;; amdgpu-corpus repo=LLNL/RAJAPerf kind=compiled arch=gfx1250 opt=O3
	.amdgcn_target "amdgcn-amd-amdhsa--gfx1250"
	.amdhsa_code_object_version 6
	.section	.text._ZN8rajaperf5basic27multi_reduce_atomic_runtimeILl256EEEvPdS2_Plllll,"axG",@progbits,_ZN8rajaperf5basic27multi_reduce_atomic_runtimeILl256EEEvPdS2_Plllll,comdat
	.protected	_ZN8rajaperf5basic27multi_reduce_atomic_runtimeILl256EEEvPdS2_Plllll ; -- Begin function _ZN8rajaperf5basic27multi_reduce_atomic_runtimeILl256EEEvPdS2_Plllll
	.globl	_ZN8rajaperf5basic27multi_reduce_atomic_runtimeILl256EEEvPdS2_Plllll
	.p2align	8
	.type	_ZN8rajaperf5basic27multi_reduce_atomic_runtimeILl256EEEvPdS2_Plllll,@function
_ZN8rajaperf5basic27multi_reduce_atomic_runtimeILl256EEEvPdS2_Plllll: ; @_ZN8rajaperf5basic27multi_reduce_atomic_runtimeILl256EEEvPdS2_Plllll
; %bb.0:
	s_clause 0x1
	s_load_b256 s[4:11], s[0:1], 0x20
	s_load_b256 s[12:19], s[0:1], 0x0
	s_mov_b32 s3, -1
	s_getreg_b32 s24, hwreg(HW_REG_IB_STS2, 6, 4)
	s_wait_kmcnt 0x0
	v_cmp_lt_i64_e64 s2, s[6:7], 1
	s_and_b32 vcc_lo, exec_lo, s2
	s_cbranch_vccz .LBB0_5
; %bb.1:
	s_bfe_u32 s2, ttmp6, 0x4000c
	s_and_b32 s3, ttmp6, 15
	s_add_co_i32 s2, s2, 1
	s_mov_b32 s25, exec_lo
	s_mul_i32 s2, ttmp9, s2
	s_delay_alu instid0(SALU_CYCLE_1) | instskip(SKIP_3) | instid1(SALU_CYCLE_1)
	s_add_co_i32 s2, s3, s2
	s_cmp_eq_u32 s24, 0
	s_mov_b32 s3, 0
	s_cselect_b32 s2, ttmp9, s2
	s_lshl_b64 s[10:11], s[2:3], 8
	s_delay_alu instid0(SALU_CYCLE_1) | instskip(NEXT) | instid1(VALU_DEP_1)
	v_dual_mov_b32 v3, s11 :: v_dual_bitop2_b32 v2, s10, v0 bitop3:0x54
	v_cmpx_gt_i64_e64 s[18:19], v[2:3]
	s_cbranch_execz .LBB0_4
; %bb.2:
	v_lshrrev_b64 v[4:5], 6, v[2:3]
	s_add_nc_u64 s[10:11], s[8:9], -1
	s_lshl_b64 s[20:21], s[2:3], 11
	s_delay_alu instid0(VALU_DEP_1) | instskip(NEXT) | instid1(VALU_DEP_2)
	v_and_b32_e32 v5, s11, v5
	v_and_b32_e32 v4, s10, v4
	s_load_b32 s10, s[0:1], 0x38
	s_mov_b32 s11, 0
	s_delay_alu instid0(VALU_DEP_1)
	v_mul_u64_e32 v[6:7], s[4:5], v[4:5]
	v_lshl_or_b32 v4, v0, 3, s20
	v_mov_b32_e32 v5, s21
	s_wait_kmcnt 0x0
	s_lshl_b64 s[20:21], s[10:11], 8
	s_lshl_b64 s[22:23], s[10:11], 11
	s_delay_alu instid0(VALU_DEP_3)
	v_lshl_add_u64 v[6:7], v[6:7], 3, s[12:13]
.LBB0_3:                                ; =>This Inner Loop Header: Depth=1
	v_add_nc_u64_e32 v[8:9], s[16:17], v[4:5]
	v_add_nc_u64_e32 v[10:11], s[14:15], v[4:5]
	;; [unrolled: 1-line block ×4, first 2 shown]
	global_load_b64 v[12:13], v[8:9], off
	global_load_b64 v[14:15], v[10:11], off
	v_cmp_le_i64_e32 vcc_lo, s[18:19], v[2:3]
	s_or_b32 s11, vcc_lo, s11
	s_wait_loadcnt 0x1
	s_wait_xcnt 0x1
	v_lshl_add_u64 v[8:9], v[12:13], 3, v[6:7]
	s_wait_xcnt 0x0
	s_wait_loadcnt 0x0
	global_atomic_add_f64 v[8:9], v[14:15], off scope:SCOPE_DEV
	s_wait_xcnt 0x0
	s_and_not1_b32 exec_lo, exec_lo, s11
	s_cbranch_execnz .LBB0_3
.LBB0_4:
	s_or_b32 exec_lo, exec_lo, s25
.LBB0_5:
	s_delay_alu instid0(SALU_CYCLE_1)
	s_and_not1_b32 vcc_lo, exec_lo, s3
	s_cbranch_vccnz .LBB0_19
; %bb.6:
	v_mov_b32_e32 v1, 0
	s_mul_u64 s[2:3], s[6:7], s[4:5]
	s_mov_b32 s9, exec_lo
	s_delay_alu instid0(VALU_DEP_1)
	v_cmpx_gt_i64_e64 s[2:3], v[0:1]
	s_cbranch_execz .LBB0_9
; %bb.7:
	v_mov_b64_e32 v[2:3], 0
	v_mov_b64_e32 v[4:5], v[0:1]
	v_lshl_add_u32 v6, v0, 3, 0
	s_mov_b32 s10, 0
.LBB0_8:                                ; =>This Inner Loop Header: Depth=1
	s_delay_alu instid0(VALU_DEP_2) | instskip(SKIP_4) | instid1(SALU_CYCLE_1)
	v_add_nc_u64_e32 v[4:5], 0x100, v[4:5]
	ds_store_b64 v6, v[2:3]
	v_add_nc_u32_e32 v6, 0x800, v6
	v_cmp_le_i64_e32 vcc_lo, s[2:3], v[4:5]
	s_or_b32 s10, vcc_lo, s10
	s_and_not1_b32 exec_lo, exec_lo, s10
	s_cbranch_execnz .LBB0_8
.LBB0_9:
	s_or_b32 exec_lo, exec_lo, s9
	s_bfe_u32 s2, ttmp6, 0x4000c
	s_and_b32 s3, ttmp6, 15
	s_add_co_i32 s2, s2, 1
	s_mov_b32 s9, exec_lo
	s_mul_i32 s2, ttmp9, s2
	s_wait_storecnt_dscnt 0x0
	s_add_co_i32 s2, s3, s2
	s_cmp_eq_u32 s24, 0
	s_mov_b32 s3, 0
	s_cselect_b32 s2, ttmp9, s2
	s_barrier_signal -1
	s_lshl_b64 s[10:11], s[2:3], 8
	s_barrier_wait -1
	v_dual_mov_b32 v3, s11 :: v_dual_bitop2_b32 v2, s10, v0 bitop3:0x54
	s_delay_alu instid0(VALU_DEP_1)
	v_cmpx_gt_i64_e64 s[18:19], v[2:3]
	s_cbranch_execz .LBB0_12
; %bb.10:
	s_load_b32 s10, s[0:1], 0x38
	s_wait_xcnt 0x0
	s_add_co_i32 s0, s6, -1
	s_mov_b32 s11, s3
	v_and_b32_e32 v6, s0, v0
	s_lshl_b64 s[0:1], s[2:3], 11
	s_mov_b32 s20, s3
	v_lshl_or_b32 v4, v0, 3, s0
	v_mov_b32_e32 v5, s1
	v_lshl_add_u32 v6, v6, 3, 0
	s_wait_kmcnt 0x0
	s_lshl_b64 s[0:1], s[10:11], 8
	s_lshl_b64 s[10:11], s[10:11], 11
.LBB0_11:                               ; =>This Inner Loop Header: Depth=1
	v_add_nc_u64_e32 v[8:9], s[16:17], v[4:5]
	v_add_nc_u64_e32 v[2:3], s[0:1], v[2:3]
	global_load_b32 v7, v[8:9], off
	s_wait_xcnt 0x0
	v_add_nc_u64_e32 v[8:9], s[14:15], v[4:5]
	v_cmp_le_i64_e32 vcc_lo, s[18:19], v[2:3]
	v_add_nc_u64_e32 v[4:5], s[10:11], v[4:5]
	global_load_b64 v[8:9], v[8:9], off
	s_or_b32 s20, vcc_lo, s20
	s_wait_loadcnt 0x1
	v_mul_lo_u32 v7, v7, s6
	s_delay_alu instid0(VALU_DEP_1)
	v_lshl_add_u32 v7, v7, 3, v6
	s_wait_loadcnt 0x0
	ds_add_f64 v7, v[8:9]
	s_wait_xcnt 0x0
	s_and_not1_b32 exec_lo, exec_lo, s20
	s_cbranch_execnz .LBB0_11
.LBB0_12:
	s_or_b32 exec_lo, exec_lo, s9
	s_wait_dscnt 0x0
	s_barrier_signal -1
	s_barrier_wait -1
	s_mov_b32 s0, exec_lo
	v_cmpx_gt_i64_e64 s[4:5], v[0:1]
	s_cbranch_execz .LBB0_19
; %bb.13:
	s_add_co_i32 s0, s8, -1
	s_delay_alu instid0(SALU_CYCLE_1) | instskip(SKIP_2) | instid1(SALU_CYCLE_1)
	s_and_b64 s[0:1], s[0:1], s[2:3]
	s_mov_b64 s[2:3], 0xffffffff
	s_mul_u64 s[0:1], s[0:1], s[4:5]
	s_lshl_b64 s[8:9], s[0:1], 3
	s_add_nc_u64 s[0:1], s[6:7], s[2:3]
	s_add_nc_u64 s[2:3], s[12:13], s[8:9]
	s_mov_b32 s1, 0
	s_branch .LBB0_15
.LBB0_14:                               ;   in Loop: Header=BB0_15 Depth=1
	s_wait_xcnt 0x0
	s_or_b32 exec_lo, exec_lo, s8
	v_add_nc_u64_e32 v[0:1], 0x100, v[0:1]
	s_delay_alu instid0(VALU_DEP_1) | instskip(SKIP_1) | instid1(SALU_CYCLE_1)
	v_cmp_le_i64_e32 vcc_lo, s[4:5], v[0:1]
	s_or_b32 s1, vcc_lo, s1
	s_and_not1_b32 exec_lo, exec_lo, s1
	s_cbranch_execz .LBB0_19
.LBB0_15:                               ; =>This Loop Header: Depth=1
                                        ;     Child Loop BB0_16 Depth 2
	v_mul_lo_u32 v4, v0, s6
	v_mov_b64_e32 v[2:3], 0
	s_mov_b64 s[8:9], 0
	s_delay_alu instid0(VALU_DEP_2)
	v_lshl_add_u32 v4, v4, 3, 0
.LBB0_16:                               ;   Parent Loop BB0_15 Depth=1
                                        ; =>  This Inner Loop Header: Depth=2
	s_and_b32 s10, s8, s0
	s_add_nc_u64 s[8:9], s[8:9], 1
	s_delay_alu instid0(VALU_DEP_1)
	v_lshl_add_u32 v5, s10, 3, v4
	s_cmp_eq_u64 s[6:7], s[8:9]
	ds_load_b64 v[6:7], v5
	s_wait_dscnt 0x0
	v_add_f64_e32 v[2:3], v[2:3], v[6:7]
	s_cbranch_scc0 .LBB0_16
; %bb.17:                               ;   in Loop: Header=BB0_15 Depth=1
	s_mov_b32 s8, exec_lo
	s_delay_alu instid0(VALU_DEP_1)
	v_cmpx_neq_f64_e32 0, v[2:3]
	s_cbranch_execz .LBB0_14
; %bb.18:                               ;   in Loop: Header=BB0_15 Depth=1
	v_lshl_add_u64 v[4:5], v[0:1], 3, s[2:3]
	global_atomic_add_f64 v[4:5], v[2:3], off scope:SCOPE_DEV
	s_branch .LBB0_14
.LBB0_19:
	s_endpgm
	.section	.rodata,"a",@progbits
	.p2align	6, 0x0
	.amdhsa_kernel _ZN8rajaperf5basic27multi_reduce_atomic_runtimeILl256EEEvPdS2_Plllll
		.amdhsa_group_segment_fixed_size 0
		.amdhsa_private_segment_fixed_size 0
		.amdhsa_kernarg_size 312
		.amdhsa_user_sgpr_count 2
		.amdhsa_user_sgpr_dispatch_ptr 0
		.amdhsa_user_sgpr_queue_ptr 0
		.amdhsa_user_sgpr_kernarg_segment_ptr 1
		.amdhsa_user_sgpr_dispatch_id 0
		.amdhsa_user_sgpr_kernarg_preload_length 0
		.amdhsa_user_sgpr_kernarg_preload_offset 0
		.amdhsa_user_sgpr_private_segment_size 0
		.amdhsa_wavefront_size32 1
		.amdhsa_uses_dynamic_stack 0
		.amdhsa_enable_private_segment 0
		.amdhsa_system_sgpr_workgroup_id_x 1
		.amdhsa_system_sgpr_workgroup_id_y 0
		.amdhsa_system_sgpr_workgroup_id_z 0
		.amdhsa_system_sgpr_workgroup_info 0
		.amdhsa_system_vgpr_workitem_id 0
		.amdhsa_next_free_vgpr 16
		.amdhsa_next_free_sgpr 26
		.amdhsa_named_barrier_count 0
		.amdhsa_reserve_vcc 1
		.amdhsa_float_round_mode_32 0
		.amdhsa_float_round_mode_16_64 0
		.amdhsa_float_denorm_mode_32 3
		.amdhsa_float_denorm_mode_16_64 3
		.amdhsa_fp16_overflow 0
		.amdhsa_memory_ordered 1
		.amdhsa_forward_progress 1
		.amdhsa_inst_pref_size 7
		.amdhsa_round_robin_scheduling 0
		.amdhsa_exception_fp_ieee_invalid_op 0
		.amdhsa_exception_fp_denorm_src 0
		.amdhsa_exception_fp_ieee_div_zero 0
		.amdhsa_exception_fp_ieee_overflow 0
		.amdhsa_exception_fp_ieee_underflow 0
		.amdhsa_exception_fp_ieee_inexact 0
		.amdhsa_exception_int_div_zero 0
	.end_amdhsa_kernel
	.section	.text._ZN8rajaperf5basic27multi_reduce_atomic_runtimeILl256EEEvPdS2_Plllll,"axG",@progbits,_ZN8rajaperf5basic27multi_reduce_atomic_runtimeILl256EEEvPdS2_Plllll,comdat
.Lfunc_end0:
	.size	_ZN8rajaperf5basic27multi_reduce_atomic_runtimeILl256EEEvPdS2_Plllll, .Lfunc_end0-_ZN8rajaperf5basic27multi_reduce_atomic_runtimeILl256EEEvPdS2_Plllll
                                        ; -- End function
	.set _ZN8rajaperf5basic27multi_reduce_atomic_runtimeILl256EEEvPdS2_Plllll.num_vgpr, 16
	.set _ZN8rajaperf5basic27multi_reduce_atomic_runtimeILl256EEEvPdS2_Plllll.num_agpr, 0
	.set _ZN8rajaperf5basic27multi_reduce_atomic_runtimeILl256EEEvPdS2_Plllll.numbered_sgpr, 26
	.set _ZN8rajaperf5basic27multi_reduce_atomic_runtimeILl256EEEvPdS2_Plllll.num_named_barrier, 0
	.set _ZN8rajaperf5basic27multi_reduce_atomic_runtimeILl256EEEvPdS2_Plllll.private_seg_size, 0
	.set _ZN8rajaperf5basic27multi_reduce_atomic_runtimeILl256EEEvPdS2_Plllll.uses_vcc, 1
	.set _ZN8rajaperf5basic27multi_reduce_atomic_runtimeILl256EEEvPdS2_Plllll.uses_flat_scratch, 0
	.set _ZN8rajaperf5basic27multi_reduce_atomic_runtimeILl256EEEvPdS2_Plllll.has_dyn_sized_stack, 0
	.set _ZN8rajaperf5basic27multi_reduce_atomic_runtimeILl256EEEvPdS2_Plllll.has_recursion, 0
	.set _ZN8rajaperf5basic27multi_reduce_atomic_runtimeILl256EEEvPdS2_Plllll.has_indirect_call, 0
	.section	.AMDGPU.csdata,"",@progbits
; Kernel info:
; codeLenInByte = 892
; TotalNumSgprs: 28
; NumVgprs: 16
; ScratchSize: 0
; MemoryBound: 0
; FloatMode: 240
; IeeeMode: 1
; LDSByteSize: 0 bytes/workgroup (compile time only)
; SGPRBlocks: 0
; VGPRBlocks: 0
; NumSGPRsForWavesPerEU: 28
; NumVGPRsForWavesPerEU: 16
; NamedBarCnt: 0
; Occupancy: 16
; WaveLimiterHint : 1
; COMPUTE_PGM_RSRC2:SCRATCH_EN: 0
; COMPUTE_PGM_RSRC2:USER_SGPR: 2
; COMPUTE_PGM_RSRC2:TRAP_HANDLER: 0
; COMPUTE_PGM_RSRC2:TGID_X_EN: 1
; COMPUTE_PGM_RSRC2:TGID_Y_EN: 0
; COMPUTE_PGM_RSRC2:TGID_Z_EN: 0
; COMPUTE_PGM_RSRC2:TIDIG_COMP_CNT: 0
	.section	.text._ZN4RAJA6policy3hip4impl18forallp_hip_kernelINS1_8hip_execINS_17iteration_mapping6DirectENS_3hip11IndexGlobalILNS_9named_dimE0ELi256ELi0EEENS7_40AvoidDeviceMaxThreadOccupancyConcretizerINS7_34FractionOffsetOccupancyConcretizerINS_8FractionImLm1ELm1EEELln1EEEEELb1EEENS_9Iterators16numeric_iteratorIllPlEEZN8rajaperf5basic12MULTI_REDUCE26runHipVariantAtomicRuntimeILl256ELl32ELl4ENSM_11gpu_mapping20global_direct_helperEEEvNSM_9VariantIDEEUllE_lNS_4expt15ForallParamPackIJEEES6_SA_TnNSt9enable_ifIXaasr3std10is_base_ofINS5_10DirectBaseET4_EE5valuegtsrT5_10block_sizeLi0EEmE4typeELm256EEEvT1_T0_T2_T3_,"axG",@progbits,_ZN4RAJA6policy3hip4impl18forallp_hip_kernelINS1_8hip_execINS_17iteration_mapping6DirectENS_3hip11IndexGlobalILNS_9named_dimE0ELi256ELi0EEENS7_40AvoidDeviceMaxThreadOccupancyConcretizerINS7_34FractionOffsetOccupancyConcretizerINS_8FractionImLm1ELm1EEELln1EEEEELb1EEENS_9Iterators16numeric_iteratorIllPlEEZN8rajaperf5basic12MULTI_REDUCE26runHipVariantAtomicRuntimeILl256ELl32ELl4ENSM_11gpu_mapping20global_direct_helperEEEvNSM_9VariantIDEEUllE_lNS_4expt15ForallParamPackIJEEES6_SA_TnNSt9enable_ifIXaasr3std10is_base_ofINS5_10DirectBaseET4_EE5valuegtsrT5_10block_sizeLi0EEmE4typeELm256EEEvT1_T0_T2_T3_,comdat
	.protected	_ZN4RAJA6policy3hip4impl18forallp_hip_kernelINS1_8hip_execINS_17iteration_mapping6DirectENS_3hip11IndexGlobalILNS_9named_dimE0ELi256ELi0EEENS7_40AvoidDeviceMaxThreadOccupancyConcretizerINS7_34FractionOffsetOccupancyConcretizerINS_8FractionImLm1ELm1EEELln1EEEEELb1EEENS_9Iterators16numeric_iteratorIllPlEEZN8rajaperf5basic12MULTI_REDUCE26runHipVariantAtomicRuntimeILl256ELl32ELl4ENSM_11gpu_mapping20global_direct_helperEEEvNSM_9VariantIDEEUllE_lNS_4expt15ForallParamPackIJEEES6_SA_TnNSt9enable_ifIXaasr3std10is_base_ofINS5_10DirectBaseET4_EE5valuegtsrT5_10block_sizeLi0EEmE4typeELm256EEEvT1_T0_T2_T3_ ; -- Begin function _ZN4RAJA6policy3hip4impl18forallp_hip_kernelINS1_8hip_execINS_17iteration_mapping6DirectENS_3hip11IndexGlobalILNS_9named_dimE0ELi256ELi0EEENS7_40AvoidDeviceMaxThreadOccupancyConcretizerINS7_34FractionOffsetOccupancyConcretizerINS_8FractionImLm1ELm1EEELln1EEEEELb1EEENS_9Iterators16numeric_iteratorIllPlEEZN8rajaperf5basic12MULTI_REDUCE26runHipVariantAtomicRuntimeILl256ELl32ELl4ENSM_11gpu_mapping20global_direct_helperEEEvNSM_9VariantIDEEUllE_lNS_4expt15ForallParamPackIJEEES6_SA_TnNSt9enable_ifIXaasr3std10is_base_ofINS5_10DirectBaseET4_EE5valuegtsrT5_10block_sizeLi0EEmE4typeELm256EEEvT1_T0_T2_T3_
	.globl	_ZN4RAJA6policy3hip4impl18forallp_hip_kernelINS1_8hip_execINS_17iteration_mapping6DirectENS_3hip11IndexGlobalILNS_9named_dimE0ELi256ELi0EEENS7_40AvoidDeviceMaxThreadOccupancyConcretizerINS7_34FractionOffsetOccupancyConcretizerINS_8FractionImLm1ELm1EEELln1EEEEELb1EEENS_9Iterators16numeric_iteratorIllPlEEZN8rajaperf5basic12MULTI_REDUCE26runHipVariantAtomicRuntimeILl256ELl32ELl4ENSM_11gpu_mapping20global_direct_helperEEEvNSM_9VariantIDEEUllE_lNS_4expt15ForallParamPackIJEEES6_SA_TnNSt9enable_ifIXaasr3std10is_base_ofINS5_10DirectBaseET4_EE5valuegtsrT5_10block_sizeLi0EEmE4typeELm256EEEvT1_T0_T2_T3_
	.p2align	8
	.type	_ZN4RAJA6policy3hip4impl18forallp_hip_kernelINS1_8hip_execINS_17iteration_mapping6DirectENS_3hip11IndexGlobalILNS_9named_dimE0ELi256ELi0EEENS7_40AvoidDeviceMaxThreadOccupancyConcretizerINS7_34FractionOffsetOccupancyConcretizerINS_8FractionImLm1ELm1EEELln1EEEEELb1EEENS_9Iterators16numeric_iteratorIllPlEEZN8rajaperf5basic12MULTI_REDUCE26runHipVariantAtomicRuntimeILl256ELl32ELl4ENSM_11gpu_mapping20global_direct_helperEEEvNSM_9VariantIDEEUllE_lNS_4expt15ForallParamPackIJEEES6_SA_TnNSt9enable_ifIXaasr3std10is_base_ofINS5_10DirectBaseET4_EE5valuegtsrT5_10block_sizeLi0EEmE4typeELm256EEEvT1_T0_T2_T3_,@function
_ZN4RAJA6policy3hip4impl18forallp_hip_kernelINS1_8hip_execINS_17iteration_mapping6DirectENS_3hip11IndexGlobalILNS_9named_dimE0ELi256ELi0EEENS7_40AvoidDeviceMaxThreadOccupancyConcretizerINS7_34FractionOffsetOccupancyConcretizerINS_8FractionImLm1ELm1EEELln1EEEEELb1EEENS_9Iterators16numeric_iteratorIllPlEEZN8rajaperf5basic12MULTI_REDUCE26runHipVariantAtomicRuntimeILl256ELl32ELl4ENSM_11gpu_mapping20global_direct_helperEEEvNSM_9VariantIDEEUllE_lNS_4expt15ForallParamPackIJEEES6_SA_TnNSt9enable_ifIXaasr3std10is_base_ofINS5_10DirectBaseET4_EE5valuegtsrT5_10block_sizeLi0EEmE4typeELm256EEEvT1_T0_T2_T3_: ; @_ZN4RAJA6policy3hip4impl18forallp_hip_kernelINS1_8hip_execINS_17iteration_mapping6DirectENS_3hip11IndexGlobalILNS_9named_dimE0ELi256ELi0EEENS7_40AvoidDeviceMaxThreadOccupancyConcretizerINS7_34FractionOffsetOccupancyConcretizerINS_8FractionImLm1ELm1EEELln1EEEEELb1EEENS_9Iterators16numeric_iteratorIllPlEEZN8rajaperf5basic12MULTI_REDUCE26runHipVariantAtomicRuntimeILl256ELl32ELl4ENSM_11gpu_mapping20global_direct_helperEEEvNSM_9VariantIDEEUllE_lNS_4expt15ForallParamPackIJEEES6_SA_TnNSt9enable_ifIXaasr3std10is_base_ofINS5_10DirectBaseET4_EE5valuegtsrT5_10block_sizeLi0EEmE4typeELm256EEEvT1_T0_T2_T3_
; %bb.0:
	s_clause 0x3
	s_load_b64 s[20:21], s[0:1], 0x0
	s_load_b256 s[12:19], s[0:1], 0x40
	s_load_b256 s[4:11], s[0:1], 0x10
	s_load_b32 s22, s[0:1], 0x30
	s_wait_kmcnt 0x0
	s_cmp_eq_u64 s[20:21], 0
	s_cselect_b32 s3, -1, 0
	s_cmp_lg_u64 s[20:21], 0
	s_cbranch_scc1 .LBB1_6
; %bb.1:
	s_cmp_eq_u32 s11, 0x7ffffffe
	s_cselect_b32 s2, -1, 0
	s_cmp_eq_u32 0, -1
	s_cselect_b32 s20, -1, 0
	s_delay_alu instid0(SALU_CYCLE_1) | instskip(NEXT) | instid1(SALU_CYCLE_1)
	s_or_b32 s2, s2, s20
	s_and_b32 vcc_lo, exec_lo, s2
	s_cbranch_vccnz .LBB1_6
; %bb.2:
	s_load_b32 s2, s[0:1], 0x74
	v_and_b32_e32 v1, 0x3ff, v0
	v_bfe_u32 v2, v0, 10, 10
	s_wait_kmcnt 0x0
	s_and_b32 s20, s2, 0xffff
	s_lshr_b32 s21, s2, 16
	s_delay_alu instid0(VALU_DEP_1) | instskip(SKIP_4) | instid1(VALU_DEP_1)
	v_mad_u32_u24 v1, v2, s20, v1
	v_bfe_u32 v2, v0, 20, 10
	s_mul_i32 s21, s21, s20
	s_mul_i32 s2, s22, s8
	s_mov_b32 s20, exec_lo
	v_mad_u32 v1, s21, v2, v1
	s_delay_alu instid0(VALU_DEP_1)
	v_cmpx_gt_i32_e64 s2, v1
	s_cbranch_execz .LBB1_5
; %bb.3:
	s_load_b32 s23, s[0:1], 0x78
	v_lshlrev_b32_e32 v2, 3, v1
	s_delay_alu instid0(VALU_DEP_1) | instskip(SKIP_3) | instid1(SALU_CYCLE_1)
	v_add3_u32 v4, 0, s11, v2
	v_mov_b64_e32 v[2:3], s[6:7]
	s_wait_kmcnt 0x0
	s_and_b32 s23, s23, 0xffff
	s_and_b32 s23, s23, 0xffff
	s_delay_alu instid0(SALU_CYCLE_1)
	s_mul_i32 s21, s21, s23
	s_mov_b32 s23, 0
	s_lshl_b32 s24, s21, 3
.LBB1_4:                                ; =>This Inner Loop Header: Depth=1
	v_add_nc_u32_e32 v1, s21, v1
	ds_store_b64 v4, v[2:3]
	v_add_nc_u32_e32 v4, s24, v4
	v_cmp_le_i32_e32 vcc_lo, s2, v1
	s_or_b32 s23, vcc_lo, s23
	s_delay_alu instid0(SALU_CYCLE_1)
	s_and_not1_b32 exec_lo, exec_lo, s23
	s_cbranch_execnz .LBB1_4
.LBB1_5:
	s_or_b32 exec_lo, exec_lo, s20
	s_wait_dscnt 0x0
	s_barrier_signal -1
	s_barrier_wait -1
.LBB1_6:
	s_bfe_u32 s2, ttmp6, 0x4000c
	s_and_b32 s20, ttmp6, 15
	s_add_co_i32 s2, s2, 1
	s_getreg_b32 s23, hwreg(HW_REG_IB_STS2, 6, 4)
	s_mul_i32 s2, ttmp9, s2
	v_and_b32_e32 v1, 0x3ff, v0
	s_add_co_i32 s20, s20, s2
	s_cmp_eq_u32 s23, 0
	s_mov_b32 s21, 0
	s_cselect_b32 s20, ttmp9, s20
	s_delay_alu instid0(SALU_CYCLE_1) | instskip(NEXT) | instid1(SALU_CYCLE_1)
	s_lshl_b64 s[24:25], s[20:21], 8
	v_dual_mov_b32 v3, s25 :: v_dual_bitop2_b32 v2, s24, v1 bitop3:0x54
	s_delay_alu instid0(VALU_DEP_1)
	v_cmp_gt_i64_e32 vcc_lo, s[18:19], v[2:3]
	s_and_saveexec_b32 s18, vcc_lo
	s_cbranch_execz .LBB1_14
; %bb.7:
	v_add_nc_u64_e32 v[2:3], s[16:17], v[2:3]
	s_cmp_eq_u32 s11, 0x7ffffffe
	s_delay_alu instid0(VALU_DEP_1) | instskip(NEXT) | instid1(VALU_DEP_1)
	v_lshlrev_b64_e32 v[4:5], 3, v[2:3]
	v_add_nc_u64_e32 v[2:3], s[14:15], v[4:5]
	v_add_nc_u64_e32 v[4:5], s[12:13], v[4:5]
	s_cselect_b32 s12, -1, 0
	s_cmp_eq_u32 0, -1
	s_cselect_b32 s13, -1, 0
	s_delay_alu instid0(SALU_CYCLE_1)
	s_or_b32 s12, s12, s13
	global_load_b64 v[2:3], v[2:3], off
	global_load_b32 v4, v[4:5], off
	s_and_b32 vcc_lo, exec_lo, s12
	s_mov_b32 s12, -1
	s_wait_loadcnt 0x1
	v_cmp_neq_f64_e64 s2, s[6:7], v[2:3]
	s_cbranch_vccnz .LBB1_11
; %bb.8:
	s_wait_xcnt 0x0
	s_and_saveexec_b32 s12, s2
	s_cbranch_execz .LBB1_10
; %bb.9:
	s_load_b32 s13, s[0:1], 0x74
	v_bfe_u32 v5, v0, 10, 10
	v_bfe_u32 v6, v0, 20, 10
	s_wait_kmcnt 0x0
	s_lshr_b32 s14, s13, 16
	s_and_b32 s13, s13, 0xffff
	s_delay_alu instid0(VALU_DEP_1) | instskip(SKIP_2) | instid1(VALU_DEP_2)
	v_mad_u32_u24 v5, v6, s14, v5
	s_wait_loadcnt 0x0
	v_mul_lo_u32 v6, s22, v4
	v_mad_u32 v5, v5, s13, v1
	s_add_co_i32 s13, s22, -1
	s_delay_alu instid0(VALU_DEP_1) | instid1(SALU_CYCLE_1)
	v_dual_lshlrev_b32 v6, 3, v6 :: v_dual_bitop2_b32 v5, s13, v5 bitop3:0x40
	s_add_co_i32 s13, s11, 0
	s_delay_alu instid0(VALU_DEP_1) | instskip(NEXT) | instid1(VALU_DEP_1)
	v_lshlrev_b32_e32 v5, 3, v5
	v_add3_u32 v5, s13, v5, v6
	ds_add_f64 v5, v[2:3]
.LBB1_10:
	s_or_b32 exec_lo, exec_lo, s12
	s_mov_b32 s12, 0
.LBB1_11:
	s_delay_alu instid0(SALU_CYCLE_1)
	s_and_not1_b32 vcc_lo, exec_lo, s12
	s_cbranch_vccnz .LBB1_14
; %bb.12:
	s_wait_xcnt 0x0
	s_and_b32 exec_lo, exec_lo, s2
	s_cbranch_execz .LBB1_14
; %bb.13:
	v_mov_b32_e32 v5, 0
	s_add_nc_u64 s[14:15], s[0:1], 0x68
	s_mov_b32 s17, 0
	v_bfe_u32 v7, v0, 10, 10
	v_bfe_u32 v9, v0, 20, 10
	global_load_b32 v5, v5, s[0:1] offset:118
	s_load_b64 s[12:13], s[0:1], 0x68
	s_wait_kmcnt 0x0
	s_cmp_lt_u32 s20, s12
	s_cselect_b32 s16, 12, 18
	s_bfe_u32 s19, ttmp6, 0x40008
	s_add_nc_u64 s[14:15], s[14:15], s[16:17]
	s_lshr_b32 s16, ttmp7, 16
	s_load_u16 s2, s[14:15], 0x0
	s_wait_xcnt 0x0
	s_bfe_u32 s15, ttmp6, 0x40010
	s_and_b32 s14, ttmp7, 0xffff
	s_add_co_i32 s15, s15, 1
	s_bfe_u32 s17, ttmp6, 0x40004
	s_mul_i32 s15, s14, s15
	s_delay_alu instid0(SALU_CYCLE_1) | instskip(SKIP_4) | instid1(VALU_DEP_2)
	s_add_co_i32 s17, s17, s15
	s_wait_loadcnt 0x0
	v_and_b32_e32 v6, 0xffff, v5
	v_lshrrev_b32_e32 v5, 16, v5
	s_wait_kmcnt 0x0
	v_mul_lo_u32 v8, v6, s2
	v_mad_u32_u24 v6, v9, v6, v7
	s_delay_alu instid0(VALU_DEP_1) | instskip(SKIP_1) | instid1(SALU_CYCLE_1)
	v_mad_u32 v6, v6, s2, v1
	s_bfe_u32 s2, ttmp6, 0x40014
	s_add_co_i32 s2, s2, 1
	s_delay_alu instid0(SALU_CYCLE_1) | instskip(NEXT) | instid1(VALU_DEP_3)
	s_mul_i32 s2, s16, s2
	v_mul_lo_u32 v5, v8, v5
	s_add_co_i32 s19, s19, s2
	s_cmp_eq_u32 s23, 0
	s_cselect_b32 s2, s16, s19
	s_delay_alu instid0(VALU_DEP_2) | instskip(SKIP_2) | instid1(SALU_CYCLE_1)
	v_lshrrev_b32_e32 v6, 6, v6
	s_mul_i32 s2, s13, s2
	s_cselect_b32 s13, s14, s17
	s_add_co_i32 s2, s2, s13
	s_delay_alu instid0(VALU_DEP_2) | instskip(SKIP_1) | instid1(SALU_CYCLE_1)
	v_add_nc_u32_e32 v5, 63, v5
	s_mul_i32 s2, s2, s12
	s_add_co_i32 s2, s2, s20
	s_delay_alu instid0(VALU_DEP_1) | instskip(NEXT) | instid1(VALU_DEP_1)
	v_lshrrev_b32_e32 v5, 6, v5
	v_mad_u32 v5, v5, s2, v6
	s_add_co_i32 s2, s10, -1
	s_delay_alu instid0(VALU_DEP_1) | instid1(SALU_CYCLE_1)
	v_and_b32_e32 v5, s2, v5
	s_delay_alu instid0(VALU_DEP_1)
	v_mad_u32 v4, v5, s9, v4
	global_atomic_add_f64 v4, v[2:3], s[4:5] scale_offset scope:SCOPE_DEV
.LBB1_14:
	s_wait_xcnt 0x0
	s_or_b32 exec_lo, exec_lo, s18
	s_delay_alu instid0(SALU_CYCLE_1)
	s_and_not1_b32 vcc_lo, exec_lo, s3
	s_cbranch_vccnz .LBB1_24
; %bb.15:
	s_cmp_eq_u32 s11, 0x7ffffffe
	s_mov_b32 s13, 0
	s_cselect_b32 s2, -1, 0
	s_cmp_eq_u32 0, -1
	s_cselect_b32 s3, -1, 0
	s_delay_alu instid0(SALU_CYCLE_1) | instskip(NEXT) | instid1(SALU_CYCLE_1)
	s_or_b32 s2, s2, s3
	s_and_b32 vcc_lo, exec_lo, s2
	s_cbranch_vccnz .LBB1_24
; %bb.16:
	v_mov_b32_e32 v2, 0
	s_load_b64 s[2:3], s[0:1], 0x68
	global_load_b32 v3, v2, s[0:1] offset:118
	s_wait_xcnt 0x0
	s_add_nc_u64 s[0:1], s[0:1], 0x68
	v_bfe_u32 v2, v0, 10, 10
	v_bfe_u32 v0, v0, 20, 10
	s_wait_kmcnt 0x0
	s_cmp_lt_u32 s20, s2
	s_cselect_b32 s12, 12, 18
	s_delay_alu instid0(SALU_CYCLE_1)
	s_add_nc_u64 s[0:1], s[0:1], s[12:13]
	s_load_u16 s0, s[0:1], 0x0
	s_wait_storecnt 0x0
	s_wait_loadcnt_dscnt 0x0
	s_barrier_signal -1
	s_barrier_wait -1
	s_wait_xcnt 0x0
	s_mov_b32 s1, exec_lo
	s_wait_kmcnt 0x0
	v_mad_u32_u24 v1, v2, s0, v1
	v_and_b32_e32 v5, 0xffff, v3
	s_delay_alu instid0(VALU_DEP_1) | instskip(NEXT) | instid1(VALU_DEP_1)
	v_mul_lo_u32 v4, v5, s0
	v_mad_u32 v2, v4, v0, v1
	s_delay_alu instid0(VALU_DEP_1)
	v_cmpx_gt_i32_e64 s8, v2
	s_cbranch_execz .LBB1_24
; %bb.17:
	s_mul_i32 s0, s22, s0
	s_bfe_u32 s1, ttmp6, 0x40010
	v_mul_lo_u32 v0, s0, v5
	v_mul_lo_u32 v1, s22, v2
	s_and_b32 s12, ttmp7, 0xffff
	s_add_co_i32 s1, s1, 1
	s_bfe_u32 s14, ttmp6, 0x40014
	s_bfe_u32 s13, ttmp6, 0x40004
	s_mul_i32 s1, s12, s1
	s_lshr_b32 s15, ttmp7, 16
	s_add_co_i32 s14, s14, 1
	s_add_co_i32 s13, s13, s1
	s_mul_i32 s1, s15, s14
	s_bfe_u32 s14, ttmp6, 0x40008
	v_dual_lshrrev_b32 v3, 16, v3 :: v_dual_lshlrev_b32 v1, 3, v1
	s_add_co_i32 s14, s14, s1
	s_cmp_eq_u32 s23, 0
	s_cselect_b32 s0, s15, s14
	s_delay_alu instid0(VALU_DEP_1)
	v_mul_lo_u32 v0, v0, v3
	s_mul_i32 s0, s3, s0
	s_cselect_b32 s1, s12, s13
	v_mul_lo_u32 v3, v4, v3
	s_add_co_i32 s0, s0, s1
	v_add3_u32 v4, 0, s11, v1
	s_mul_i32 s0, s0, s2
	s_delay_alu instid0(SALU_CYCLE_1)
	s_add_co_i32 s1, s0, s20
	s_cmp_gt_i32 s22, 0
	s_cselect_b32 s0, -1, 0
	s_add_co_i32 s2, s10, -1
	v_lshlrev_b32_e32 v5, 3, v0
	s_and_b32 s2, s1, s2
	s_mov_b32 s1, 0
	s_mul_i32 s2, s2, s9
	s_branch .LBB1_19
.LBB1_18:                               ;   in Loop: Header=BB1_19 Depth=1
	s_wait_xcnt 0x0
	s_or_b32 exec_lo, exec_lo, s3
	v_dual_add_nc_u32 v2, v2, v3 :: v_dual_add_nc_u32 v4, v4, v5
	s_delay_alu instid0(VALU_DEP_1) | instskip(SKIP_1) | instid1(SALU_CYCLE_1)
	v_cmp_le_i32_e32 vcc_lo, s8, v2
	s_or_b32 s1, vcc_lo, s1
	s_and_not1_b32 exec_lo, exec_lo, s1
	s_cbranch_execz .LBB1_24
.LBB1_19:                               ; =>This Loop Header: Depth=1
                                        ;     Child Loop BB1_21 Depth 2
	v_mov_b64_e32 v[0:1], s[6:7]
	s_and_not1_b32 vcc_lo, exec_lo, s0
	s_cbranch_vccnz .LBB1_22
; %bb.20:                               ;   in Loop: Header=BB1_19 Depth=1
	v_mov_b64_e32 v[0:1], s[6:7]
	v_mov_b32_e32 v6, v4
	s_mov_b32 s3, s22
.LBB1_21:                               ;   Parent Loop BB1_19 Depth=1
                                        ; =>  This Inner Loop Header: Depth=2
	ds_load_b64 v[8:9], v6
	s_add_co_i32 s3, s3, -1
	v_add_nc_u32_e32 v6, 8, v6
	s_cmp_eq_u32 s3, 0
	s_wait_dscnt 0x0
	v_add_f64_e32 v[0:1], v[0:1], v[8:9]
	s_cbranch_scc0 .LBB1_21
.LBB1_22:                               ;   in Loop: Header=BB1_19 Depth=1
	s_mov_b32 s3, exec_lo
	s_delay_alu instid0(VALU_DEP_1)
	v_cmpx_neq_f64_e32 s[6:7], v[0:1]
	s_cbranch_execz .LBB1_18
; %bb.23:                               ;   in Loop: Header=BB1_19 Depth=1
	v_add_nc_u32_e32 v6, s2, v2
	global_atomic_add_f64 v6, v[0:1], s[4:5] scale_offset scope:SCOPE_DEV
	s_branch .LBB1_18
.LBB1_24:
	s_endpgm
	.section	.rodata,"a",@progbits
	.p2align	6, 0x0
	.amdhsa_kernel _ZN4RAJA6policy3hip4impl18forallp_hip_kernelINS1_8hip_execINS_17iteration_mapping6DirectENS_3hip11IndexGlobalILNS_9named_dimE0ELi256ELi0EEENS7_40AvoidDeviceMaxThreadOccupancyConcretizerINS7_34FractionOffsetOccupancyConcretizerINS_8FractionImLm1ELm1EEELln1EEEEELb1EEENS_9Iterators16numeric_iteratorIllPlEEZN8rajaperf5basic12MULTI_REDUCE26runHipVariantAtomicRuntimeILl256ELl32ELl4ENSM_11gpu_mapping20global_direct_helperEEEvNSM_9VariantIDEEUllE_lNS_4expt15ForallParamPackIJEEES6_SA_TnNSt9enable_ifIXaasr3std10is_base_ofINS5_10DirectBaseET4_EE5valuegtsrT5_10block_sizeLi0EEmE4typeELm256EEEvT1_T0_T2_T3_
		.amdhsa_group_segment_fixed_size 0
		.amdhsa_private_segment_fixed_size 0
		.amdhsa_kernarg_size 360
		.amdhsa_user_sgpr_count 2
		.amdhsa_user_sgpr_dispatch_ptr 0
		.amdhsa_user_sgpr_queue_ptr 0
		.amdhsa_user_sgpr_kernarg_segment_ptr 1
		.amdhsa_user_sgpr_dispatch_id 0
		.amdhsa_user_sgpr_kernarg_preload_length 0
		.amdhsa_user_sgpr_kernarg_preload_offset 0
		.amdhsa_user_sgpr_private_segment_size 0
		.amdhsa_wavefront_size32 1
		.amdhsa_uses_dynamic_stack 0
		.amdhsa_enable_private_segment 0
		.amdhsa_system_sgpr_workgroup_id_x 1
		.amdhsa_system_sgpr_workgroup_id_y 1
		.amdhsa_system_sgpr_workgroup_id_z 1
		.amdhsa_system_sgpr_workgroup_info 0
		.amdhsa_system_vgpr_workitem_id 2
		.amdhsa_next_free_vgpr 10
		.amdhsa_next_free_sgpr 26
		.amdhsa_named_barrier_count 0
		.amdhsa_reserve_vcc 1
		.amdhsa_float_round_mode_32 0
		.amdhsa_float_round_mode_16_64 0
		.amdhsa_float_denorm_mode_32 3
		.amdhsa_float_denorm_mode_16_64 3
		.amdhsa_fp16_overflow 0
		.amdhsa_memory_ordered 1
		.amdhsa_forward_progress 1
		.amdhsa_inst_pref_size 12
		.amdhsa_round_robin_scheduling 0
		.amdhsa_exception_fp_ieee_invalid_op 0
		.amdhsa_exception_fp_denorm_src 0
		.amdhsa_exception_fp_ieee_div_zero 0
		.amdhsa_exception_fp_ieee_overflow 0
		.amdhsa_exception_fp_ieee_underflow 0
		.amdhsa_exception_fp_ieee_inexact 0
		.amdhsa_exception_int_div_zero 0
	.end_amdhsa_kernel
	.section	.text._ZN4RAJA6policy3hip4impl18forallp_hip_kernelINS1_8hip_execINS_17iteration_mapping6DirectENS_3hip11IndexGlobalILNS_9named_dimE0ELi256ELi0EEENS7_40AvoidDeviceMaxThreadOccupancyConcretizerINS7_34FractionOffsetOccupancyConcretizerINS_8FractionImLm1ELm1EEELln1EEEEELb1EEENS_9Iterators16numeric_iteratorIllPlEEZN8rajaperf5basic12MULTI_REDUCE26runHipVariantAtomicRuntimeILl256ELl32ELl4ENSM_11gpu_mapping20global_direct_helperEEEvNSM_9VariantIDEEUllE_lNS_4expt15ForallParamPackIJEEES6_SA_TnNSt9enable_ifIXaasr3std10is_base_ofINS5_10DirectBaseET4_EE5valuegtsrT5_10block_sizeLi0EEmE4typeELm256EEEvT1_T0_T2_T3_,"axG",@progbits,_ZN4RAJA6policy3hip4impl18forallp_hip_kernelINS1_8hip_execINS_17iteration_mapping6DirectENS_3hip11IndexGlobalILNS_9named_dimE0ELi256ELi0EEENS7_40AvoidDeviceMaxThreadOccupancyConcretizerINS7_34FractionOffsetOccupancyConcretizerINS_8FractionImLm1ELm1EEELln1EEEEELb1EEENS_9Iterators16numeric_iteratorIllPlEEZN8rajaperf5basic12MULTI_REDUCE26runHipVariantAtomicRuntimeILl256ELl32ELl4ENSM_11gpu_mapping20global_direct_helperEEEvNSM_9VariantIDEEUllE_lNS_4expt15ForallParamPackIJEEES6_SA_TnNSt9enable_ifIXaasr3std10is_base_ofINS5_10DirectBaseET4_EE5valuegtsrT5_10block_sizeLi0EEmE4typeELm256EEEvT1_T0_T2_T3_,comdat
.Lfunc_end1:
	.size	_ZN4RAJA6policy3hip4impl18forallp_hip_kernelINS1_8hip_execINS_17iteration_mapping6DirectENS_3hip11IndexGlobalILNS_9named_dimE0ELi256ELi0EEENS7_40AvoidDeviceMaxThreadOccupancyConcretizerINS7_34FractionOffsetOccupancyConcretizerINS_8FractionImLm1ELm1EEELln1EEEEELb1EEENS_9Iterators16numeric_iteratorIllPlEEZN8rajaperf5basic12MULTI_REDUCE26runHipVariantAtomicRuntimeILl256ELl32ELl4ENSM_11gpu_mapping20global_direct_helperEEEvNSM_9VariantIDEEUllE_lNS_4expt15ForallParamPackIJEEES6_SA_TnNSt9enable_ifIXaasr3std10is_base_ofINS5_10DirectBaseET4_EE5valuegtsrT5_10block_sizeLi0EEmE4typeELm256EEEvT1_T0_T2_T3_, .Lfunc_end1-_ZN4RAJA6policy3hip4impl18forallp_hip_kernelINS1_8hip_execINS_17iteration_mapping6DirectENS_3hip11IndexGlobalILNS_9named_dimE0ELi256ELi0EEENS7_40AvoidDeviceMaxThreadOccupancyConcretizerINS7_34FractionOffsetOccupancyConcretizerINS_8FractionImLm1ELm1EEELln1EEEEELb1EEENS_9Iterators16numeric_iteratorIllPlEEZN8rajaperf5basic12MULTI_REDUCE26runHipVariantAtomicRuntimeILl256ELl32ELl4ENSM_11gpu_mapping20global_direct_helperEEEvNSM_9VariantIDEEUllE_lNS_4expt15ForallParamPackIJEEES6_SA_TnNSt9enable_ifIXaasr3std10is_base_ofINS5_10DirectBaseET4_EE5valuegtsrT5_10block_sizeLi0EEmE4typeELm256EEEvT1_T0_T2_T3_
                                        ; -- End function
	.set _ZN4RAJA6policy3hip4impl18forallp_hip_kernelINS1_8hip_execINS_17iteration_mapping6DirectENS_3hip11IndexGlobalILNS_9named_dimE0ELi256ELi0EEENS7_40AvoidDeviceMaxThreadOccupancyConcretizerINS7_34FractionOffsetOccupancyConcretizerINS_8FractionImLm1ELm1EEELln1EEEEELb1EEENS_9Iterators16numeric_iteratorIllPlEEZN8rajaperf5basic12MULTI_REDUCE26runHipVariantAtomicRuntimeILl256ELl32ELl4ENSM_11gpu_mapping20global_direct_helperEEEvNSM_9VariantIDEEUllE_lNS_4expt15ForallParamPackIJEEES6_SA_TnNSt9enable_ifIXaasr3std10is_base_ofINS5_10DirectBaseET4_EE5valuegtsrT5_10block_sizeLi0EEmE4typeELm256EEEvT1_T0_T2_T3_.num_vgpr, 10
	.set _ZN4RAJA6policy3hip4impl18forallp_hip_kernelINS1_8hip_execINS_17iteration_mapping6DirectENS_3hip11IndexGlobalILNS_9named_dimE0ELi256ELi0EEENS7_40AvoidDeviceMaxThreadOccupancyConcretizerINS7_34FractionOffsetOccupancyConcretizerINS_8FractionImLm1ELm1EEELln1EEEEELb1EEENS_9Iterators16numeric_iteratorIllPlEEZN8rajaperf5basic12MULTI_REDUCE26runHipVariantAtomicRuntimeILl256ELl32ELl4ENSM_11gpu_mapping20global_direct_helperEEEvNSM_9VariantIDEEUllE_lNS_4expt15ForallParamPackIJEEES6_SA_TnNSt9enable_ifIXaasr3std10is_base_ofINS5_10DirectBaseET4_EE5valuegtsrT5_10block_sizeLi0EEmE4typeELm256EEEvT1_T0_T2_T3_.num_agpr, 0
	.set _ZN4RAJA6policy3hip4impl18forallp_hip_kernelINS1_8hip_execINS_17iteration_mapping6DirectENS_3hip11IndexGlobalILNS_9named_dimE0ELi256ELi0EEENS7_40AvoidDeviceMaxThreadOccupancyConcretizerINS7_34FractionOffsetOccupancyConcretizerINS_8FractionImLm1ELm1EEELln1EEEEELb1EEENS_9Iterators16numeric_iteratorIllPlEEZN8rajaperf5basic12MULTI_REDUCE26runHipVariantAtomicRuntimeILl256ELl32ELl4ENSM_11gpu_mapping20global_direct_helperEEEvNSM_9VariantIDEEUllE_lNS_4expt15ForallParamPackIJEEES6_SA_TnNSt9enable_ifIXaasr3std10is_base_ofINS5_10DirectBaseET4_EE5valuegtsrT5_10block_sizeLi0EEmE4typeELm256EEEvT1_T0_T2_T3_.numbered_sgpr, 26
	.set _ZN4RAJA6policy3hip4impl18forallp_hip_kernelINS1_8hip_execINS_17iteration_mapping6DirectENS_3hip11IndexGlobalILNS_9named_dimE0ELi256ELi0EEENS7_40AvoidDeviceMaxThreadOccupancyConcretizerINS7_34FractionOffsetOccupancyConcretizerINS_8FractionImLm1ELm1EEELln1EEEEELb1EEENS_9Iterators16numeric_iteratorIllPlEEZN8rajaperf5basic12MULTI_REDUCE26runHipVariantAtomicRuntimeILl256ELl32ELl4ENSM_11gpu_mapping20global_direct_helperEEEvNSM_9VariantIDEEUllE_lNS_4expt15ForallParamPackIJEEES6_SA_TnNSt9enable_ifIXaasr3std10is_base_ofINS5_10DirectBaseET4_EE5valuegtsrT5_10block_sizeLi0EEmE4typeELm256EEEvT1_T0_T2_T3_.num_named_barrier, 0
	.set _ZN4RAJA6policy3hip4impl18forallp_hip_kernelINS1_8hip_execINS_17iteration_mapping6DirectENS_3hip11IndexGlobalILNS_9named_dimE0ELi256ELi0EEENS7_40AvoidDeviceMaxThreadOccupancyConcretizerINS7_34FractionOffsetOccupancyConcretizerINS_8FractionImLm1ELm1EEELln1EEEEELb1EEENS_9Iterators16numeric_iteratorIllPlEEZN8rajaperf5basic12MULTI_REDUCE26runHipVariantAtomicRuntimeILl256ELl32ELl4ENSM_11gpu_mapping20global_direct_helperEEEvNSM_9VariantIDEEUllE_lNS_4expt15ForallParamPackIJEEES6_SA_TnNSt9enable_ifIXaasr3std10is_base_ofINS5_10DirectBaseET4_EE5valuegtsrT5_10block_sizeLi0EEmE4typeELm256EEEvT1_T0_T2_T3_.private_seg_size, 0
	.set _ZN4RAJA6policy3hip4impl18forallp_hip_kernelINS1_8hip_execINS_17iteration_mapping6DirectENS_3hip11IndexGlobalILNS_9named_dimE0ELi256ELi0EEENS7_40AvoidDeviceMaxThreadOccupancyConcretizerINS7_34FractionOffsetOccupancyConcretizerINS_8FractionImLm1ELm1EEELln1EEEEELb1EEENS_9Iterators16numeric_iteratorIllPlEEZN8rajaperf5basic12MULTI_REDUCE26runHipVariantAtomicRuntimeILl256ELl32ELl4ENSM_11gpu_mapping20global_direct_helperEEEvNSM_9VariantIDEEUllE_lNS_4expt15ForallParamPackIJEEES6_SA_TnNSt9enable_ifIXaasr3std10is_base_ofINS5_10DirectBaseET4_EE5valuegtsrT5_10block_sizeLi0EEmE4typeELm256EEEvT1_T0_T2_T3_.uses_vcc, 1
	.set _ZN4RAJA6policy3hip4impl18forallp_hip_kernelINS1_8hip_execINS_17iteration_mapping6DirectENS_3hip11IndexGlobalILNS_9named_dimE0ELi256ELi0EEENS7_40AvoidDeviceMaxThreadOccupancyConcretizerINS7_34FractionOffsetOccupancyConcretizerINS_8FractionImLm1ELm1EEELln1EEEEELb1EEENS_9Iterators16numeric_iteratorIllPlEEZN8rajaperf5basic12MULTI_REDUCE26runHipVariantAtomicRuntimeILl256ELl32ELl4ENSM_11gpu_mapping20global_direct_helperEEEvNSM_9VariantIDEEUllE_lNS_4expt15ForallParamPackIJEEES6_SA_TnNSt9enable_ifIXaasr3std10is_base_ofINS5_10DirectBaseET4_EE5valuegtsrT5_10block_sizeLi0EEmE4typeELm256EEEvT1_T0_T2_T3_.uses_flat_scratch, 0
	.set _ZN4RAJA6policy3hip4impl18forallp_hip_kernelINS1_8hip_execINS_17iteration_mapping6DirectENS_3hip11IndexGlobalILNS_9named_dimE0ELi256ELi0EEENS7_40AvoidDeviceMaxThreadOccupancyConcretizerINS7_34FractionOffsetOccupancyConcretizerINS_8FractionImLm1ELm1EEELln1EEEEELb1EEENS_9Iterators16numeric_iteratorIllPlEEZN8rajaperf5basic12MULTI_REDUCE26runHipVariantAtomicRuntimeILl256ELl32ELl4ENSM_11gpu_mapping20global_direct_helperEEEvNSM_9VariantIDEEUllE_lNS_4expt15ForallParamPackIJEEES6_SA_TnNSt9enable_ifIXaasr3std10is_base_ofINS5_10DirectBaseET4_EE5valuegtsrT5_10block_sizeLi0EEmE4typeELm256EEEvT1_T0_T2_T3_.has_dyn_sized_stack, 0
	.set _ZN4RAJA6policy3hip4impl18forallp_hip_kernelINS1_8hip_execINS_17iteration_mapping6DirectENS_3hip11IndexGlobalILNS_9named_dimE0ELi256ELi0EEENS7_40AvoidDeviceMaxThreadOccupancyConcretizerINS7_34FractionOffsetOccupancyConcretizerINS_8FractionImLm1ELm1EEELln1EEEEELb1EEENS_9Iterators16numeric_iteratorIllPlEEZN8rajaperf5basic12MULTI_REDUCE26runHipVariantAtomicRuntimeILl256ELl32ELl4ENSM_11gpu_mapping20global_direct_helperEEEvNSM_9VariantIDEEUllE_lNS_4expt15ForallParamPackIJEEES6_SA_TnNSt9enable_ifIXaasr3std10is_base_ofINS5_10DirectBaseET4_EE5valuegtsrT5_10block_sizeLi0EEmE4typeELm256EEEvT1_T0_T2_T3_.has_recursion, 0
	.set _ZN4RAJA6policy3hip4impl18forallp_hip_kernelINS1_8hip_execINS_17iteration_mapping6DirectENS_3hip11IndexGlobalILNS_9named_dimE0ELi256ELi0EEENS7_40AvoidDeviceMaxThreadOccupancyConcretizerINS7_34FractionOffsetOccupancyConcretizerINS_8FractionImLm1ELm1EEELln1EEEEELb1EEENS_9Iterators16numeric_iteratorIllPlEEZN8rajaperf5basic12MULTI_REDUCE26runHipVariantAtomicRuntimeILl256ELl32ELl4ENSM_11gpu_mapping20global_direct_helperEEEvNSM_9VariantIDEEUllE_lNS_4expt15ForallParamPackIJEEES6_SA_TnNSt9enable_ifIXaasr3std10is_base_ofINS5_10DirectBaseET4_EE5valuegtsrT5_10block_sizeLi0EEmE4typeELm256EEEvT1_T0_T2_T3_.has_indirect_call, 0
	.section	.AMDGPU.csdata,"",@progbits
; Kernel info:
; codeLenInByte = 1504
; TotalNumSgprs: 28
; NumVgprs: 10
; ScratchSize: 0
; MemoryBound: 0
; FloatMode: 240
; IeeeMode: 1
; LDSByteSize: 0 bytes/workgroup (compile time only)
; SGPRBlocks: 0
; VGPRBlocks: 0
; NumSGPRsForWavesPerEU: 28
; NumVGPRsForWavesPerEU: 10
; NamedBarCnt: 0
; Occupancy: 16
; WaveLimiterHint : 1
; COMPUTE_PGM_RSRC2:SCRATCH_EN: 0
; COMPUTE_PGM_RSRC2:USER_SGPR: 2
; COMPUTE_PGM_RSRC2:TRAP_HANDLER: 0
; COMPUTE_PGM_RSRC2:TGID_X_EN: 1
; COMPUTE_PGM_RSRC2:TGID_Y_EN: 1
; COMPUTE_PGM_RSRC2:TGID_Z_EN: 1
; COMPUTE_PGM_RSRC2:TIDIG_COMP_CNT: 2
	.section	.text._ZN4RAJA6policy3hip4impl18forallp_hip_kernelINS1_8hip_execINS_17iteration_mapping11StridedLoopILm0EEENS_3hip11IndexGlobalILNS_9named_dimE0ELi256ELi0EEENS8_40AvoidDeviceMaxThreadOccupancyConcretizerINS8_34FractionOffsetOccupancyConcretizerINS_8FractionImLm1ELm1EEELln1EEEEELb1EEENS_9Iterators16numeric_iteratorIllPlEEZN8rajaperf5basic12MULTI_REDUCE26runHipVariantAtomicRuntimeILl256ELl32ELl4ENSN_11gpu_mapping40global_loop_occupancy_grid_stride_helperEEEvNSN_9VariantIDEEUllE_lNS_4expt15ForallParamPackIJEEES7_SB_TnNSt9enable_ifIXaaaasr3std10is_base_ofINS5_15StridedLoopBaseET4_EE5valuesr3std10is_base_ofINS5_15UnsizedLoopBaseES10_EE5valuegtsrT5_10block_sizeLi0EEmE4typeELm256EEEvT1_T0_T2_T3_,"axG",@progbits,_ZN4RAJA6policy3hip4impl18forallp_hip_kernelINS1_8hip_execINS_17iteration_mapping11StridedLoopILm0EEENS_3hip11IndexGlobalILNS_9named_dimE0ELi256ELi0EEENS8_40AvoidDeviceMaxThreadOccupancyConcretizerINS8_34FractionOffsetOccupancyConcretizerINS_8FractionImLm1ELm1EEELln1EEEEELb1EEENS_9Iterators16numeric_iteratorIllPlEEZN8rajaperf5basic12MULTI_REDUCE26runHipVariantAtomicRuntimeILl256ELl32ELl4ENSN_11gpu_mapping40global_loop_occupancy_grid_stride_helperEEEvNSN_9VariantIDEEUllE_lNS_4expt15ForallParamPackIJEEES7_SB_TnNSt9enable_ifIXaaaasr3std10is_base_ofINS5_15StridedLoopBaseET4_EE5valuesr3std10is_base_ofINS5_15UnsizedLoopBaseES10_EE5valuegtsrT5_10block_sizeLi0EEmE4typeELm256EEEvT1_T0_T2_T3_,comdat
	.protected	_ZN4RAJA6policy3hip4impl18forallp_hip_kernelINS1_8hip_execINS_17iteration_mapping11StridedLoopILm0EEENS_3hip11IndexGlobalILNS_9named_dimE0ELi256ELi0EEENS8_40AvoidDeviceMaxThreadOccupancyConcretizerINS8_34FractionOffsetOccupancyConcretizerINS_8FractionImLm1ELm1EEELln1EEEEELb1EEENS_9Iterators16numeric_iteratorIllPlEEZN8rajaperf5basic12MULTI_REDUCE26runHipVariantAtomicRuntimeILl256ELl32ELl4ENSN_11gpu_mapping40global_loop_occupancy_grid_stride_helperEEEvNSN_9VariantIDEEUllE_lNS_4expt15ForallParamPackIJEEES7_SB_TnNSt9enable_ifIXaaaasr3std10is_base_ofINS5_15StridedLoopBaseET4_EE5valuesr3std10is_base_ofINS5_15UnsizedLoopBaseES10_EE5valuegtsrT5_10block_sizeLi0EEmE4typeELm256EEEvT1_T0_T2_T3_ ; -- Begin function _ZN4RAJA6policy3hip4impl18forallp_hip_kernelINS1_8hip_execINS_17iteration_mapping11StridedLoopILm0EEENS_3hip11IndexGlobalILNS_9named_dimE0ELi256ELi0EEENS8_40AvoidDeviceMaxThreadOccupancyConcretizerINS8_34FractionOffsetOccupancyConcretizerINS_8FractionImLm1ELm1EEELln1EEEEELb1EEENS_9Iterators16numeric_iteratorIllPlEEZN8rajaperf5basic12MULTI_REDUCE26runHipVariantAtomicRuntimeILl256ELl32ELl4ENSN_11gpu_mapping40global_loop_occupancy_grid_stride_helperEEEvNSN_9VariantIDEEUllE_lNS_4expt15ForallParamPackIJEEES7_SB_TnNSt9enable_ifIXaaaasr3std10is_base_ofINS5_15StridedLoopBaseET4_EE5valuesr3std10is_base_ofINS5_15UnsizedLoopBaseES10_EE5valuegtsrT5_10block_sizeLi0EEmE4typeELm256EEEvT1_T0_T2_T3_
	.globl	_ZN4RAJA6policy3hip4impl18forallp_hip_kernelINS1_8hip_execINS_17iteration_mapping11StridedLoopILm0EEENS_3hip11IndexGlobalILNS_9named_dimE0ELi256ELi0EEENS8_40AvoidDeviceMaxThreadOccupancyConcretizerINS8_34FractionOffsetOccupancyConcretizerINS_8FractionImLm1ELm1EEELln1EEEEELb1EEENS_9Iterators16numeric_iteratorIllPlEEZN8rajaperf5basic12MULTI_REDUCE26runHipVariantAtomicRuntimeILl256ELl32ELl4ENSN_11gpu_mapping40global_loop_occupancy_grid_stride_helperEEEvNSN_9VariantIDEEUllE_lNS_4expt15ForallParamPackIJEEES7_SB_TnNSt9enable_ifIXaaaasr3std10is_base_ofINS5_15StridedLoopBaseET4_EE5valuesr3std10is_base_ofINS5_15UnsizedLoopBaseES10_EE5valuegtsrT5_10block_sizeLi0EEmE4typeELm256EEEvT1_T0_T2_T3_
	.p2align	8
	.type	_ZN4RAJA6policy3hip4impl18forallp_hip_kernelINS1_8hip_execINS_17iteration_mapping11StridedLoopILm0EEENS_3hip11IndexGlobalILNS_9named_dimE0ELi256ELi0EEENS8_40AvoidDeviceMaxThreadOccupancyConcretizerINS8_34FractionOffsetOccupancyConcretizerINS_8FractionImLm1ELm1EEELln1EEEEELb1EEENS_9Iterators16numeric_iteratorIllPlEEZN8rajaperf5basic12MULTI_REDUCE26runHipVariantAtomicRuntimeILl256ELl32ELl4ENSN_11gpu_mapping40global_loop_occupancy_grid_stride_helperEEEvNSN_9VariantIDEEUllE_lNS_4expt15ForallParamPackIJEEES7_SB_TnNSt9enable_ifIXaaaasr3std10is_base_ofINS5_15StridedLoopBaseET4_EE5valuesr3std10is_base_ofINS5_15UnsizedLoopBaseES10_EE5valuegtsrT5_10block_sizeLi0EEmE4typeELm256EEEvT1_T0_T2_T3_,@function
_ZN4RAJA6policy3hip4impl18forallp_hip_kernelINS1_8hip_execINS_17iteration_mapping11StridedLoopILm0EEENS_3hip11IndexGlobalILNS_9named_dimE0ELi256ELi0EEENS8_40AvoidDeviceMaxThreadOccupancyConcretizerINS8_34FractionOffsetOccupancyConcretizerINS_8FractionImLm1ELm1EEELln1EEEEELb1EEENS_9Iterators16numeric_iteratorIllPlEEZN8rajaperf5basic12MULTI_REDUCE26runHipVariantAtomicRuntimeILl256ELl32ELl4ENSN_11gpu_mapping40global_loop_occupancy_grid_stride_helperEEEvNSN_9VariantIDEEUllE_lNS_4expt15ForallParamPackIJEEES7_SB_TnNSt9enable_ifIXaaaasr3std10is_base_ofINS5_15StridedLoopBaseET4_EE5valuesr3std10is_base_ofINS5_15UnsizedLoopBaseES10_EE5valuegtsrT5_10block_sizeLi0EEmE4typeELm256EEEvT1_T0_T2_T3_: ; @_ZN4RAJA6policy3hip4impl18forallp_hip_kernelINS1_8hip_execINS_17iteration_mapping11StridedLoopILm0EEENS_3hip11IndexGlobalILNS_9named_dimE0ELi256ELi0EEENS8_40AvoidDeviceMaxThreadOccupancyConcretizerINS8_34FractionOffsetOccupancyConcretizerINS_8FractionImLm1ELm1EEELln1EEEEELb1EEENS_9Iterators16numeric_iteratorIllPlEEZN8rajaperf5basic12MULTI_REDUCE26runHipVariantAtomicRuntimeILl256ELl32ELl4ENSN_11gpu_mapping40global_loop_occupancy_grid_stride_helperEEEvNSN_9VariantIDEEUllE_lNS_4expt15ForallParamPackIJEEES7_SB_TnNSt9enable_ifIXaaaasr3std10is_base_ofINS5_15StridedLoopBaseET4_EE5valuesr3std10is_base_ofINS5_15UnsizedLoopBaseES10_EE5valuegtsrT5_10block_sizeLi0EEmE4typeELm256EEEvT1_T0_T2_T3_
; %bb.0:
	s_clause 0x3
	s_load_b64 s[2:3], s[0:1], 0x0
	s_load_b256 s[12:19], s[0:1], 0x40
	s_load_b256 s[4:11], s[0:1], 0x10
	s_load_b32 s26, s[0:1], 0x30
	s_wait_kmcnt 0x0
	s_cmp_eq_u64 s[2:3], 0
	s_cselect_b32 s27, -1, 0
	s_cmp_lg_u64 s[2:3], 0
	s_cbranch_scc1 .LBB2_6
; %bb.1:
	s_cmp_eq_u32 s11, 0x7ffffffe
	s_cselect_b32 s2, -1, 0
	s_cmp_eq_u32 0, -1
	s_cselect_b32 s3, -1, 0
	s_delay_alu instid0(SALU_CYCLE_1) | instskip(NEXT) | instid1(SALU_CYCLE_1)
	s_or_b32 s2, s2, s3
	s_and_b32 vcc_lo, exec_lo, s2
	s_cbranch_vccnz .LBB2_6
; %bb.2:
	s_load_b32 s2, s[0:1], 0x74
	v_and_b32_e32 v1, 0x3ff, v0
	v_bfe_u32 v2, v0, 10, 10
	s_wait_kmcnt 0x0
	s_and_b32 s3, s2, 0xffff
	s_lshr_b32 s20, s2, 16
	s_delay_alu instid0(VALU_DEP_1) | instskip(SKIP_4) | instid1(VALU_DEP_1)
	v_mad_u32_u24 v1, v2, s3, v1
	v_bfe_u32 v2, v0, 20, 10
	s_mul_i32 s20, s20, s3
	s_mul_i32 s2, s26, s8
	s_mov_b32 s3, exec_lo
	v_mad_u32 v1, s20, v2, v1
	s_delay_alu instid0(VALU_DEP_1)
	v_cmpx_gt_i32_e64 s2, v1
	s_cbranch_execz .LBB2_5
; %bb.3:
	s_load_b32 s21, s[0:1], 0x78
	v_lshlrev_b32_e32 v2, 3, v1
	s_delay_alu instid0(VALU_DEP_1) | instskip(SKIP_3) | instid1(SALU_CYCLE_1)
	v_add3_u32 v4, 0, s11, v2
	v_mov_b64_e32 v[2:3], s[6:7]
	s_wait_kmcnt 0x0
	s_and_b32 s21, s21, 0xffff
	s_and_b32 s21, s21, 0xffff
	s_delay_alu instid0(SALU_CYCLE_1)
	s_mul_i32 s20, s20, s21
	s_mov_b32 s21, 0
	s_lshl_b32 s22, s20, 3
.LBB2_4:                                ; =>This Inner Loop Header: Depth=1
	v_add_nc_u32_e32 v1, s20, v1
	ds_store_b64 v4, v[2:3]
	v_add_nc_u32_e32 v4, s22, v4
	v_cmp_le_i32_e32 vcc_lo, s2, v1
	s_or_b32 s21, vcc_lo, s21
	s_delay_alu instid0(SALU_CYCLE_1)
	s_and_not1_b32 exec_lo, exec_lo, s21
	s_cbranch_execnz .LBB2_4
.LBB2_5:
	s_or_b32 exec_lo, exec_lo, s3
	s_wait_dscnt 0x0
	s_barrier_signal -1
	s_barrier_wait -1
.LBB2_6:
	s_bfe_u32 s2, ttmp6, 0x4000c
	s_and_b32 s20, ttmp6, 15
	s_add_co_i32 s2, s2, 1
	s_getreg_b32 s28, hwreg(HW_REG_IB_STS2, 6, 4)
	s_mul_i32 s2, ttmp9, s2
	s_mov_b32 s3, 0
	s_add_co_i32 s20, s20, s2
	s_cmp_eq_u32 s28, 0
	v_and_b32_e32 v2, 0x3ff, v0
	s_mov_b32 s21, s3
	s_cselect_b32 s20, ttmp9, s20
	v_mov_b32_e32 v3, 0
	s_lshl_b64 s[24:25], s[20:21], 8
	s_mov_b32 s21, exec_lo
	v_dual_mov_b32 v5, s25 :: v_dual_bitop2_b32 v4, s24, v2 bitop3:0x54
	s_delay_alu instid0(VALU_DEP_1)
	v_cmpx_gt_i64_e64 s[18:19], v[4:5]
	s_cbranch_execz .LBB2_17
; %bb.7:
	s_cmp_lg_u32 s11, 0x7ffffffe
	s_add_nc_u64 s[16:17], s[16:17], s[24:25]
	s_cselect_b32 s2, -1, 0
	s_add_co_i32 s29, s11, 0
	s_cmp_lg_u32 0, -1
	v_add_nc_u64_e32 v[6:7], s[16:17], v[2:3]
	s_cselect_b32 s30, -1, 0
	s_bfe_u32 s35, ttmp6, 0x40010
	s_and_b32 s30, s2, s30
	s_bfe_u32 s2, ttmp6, 0x40014
	s_lshr_b32 s34, ttmp7, 16
	s_add_co_i32 s33, s2, 1
	s_load_b32 s2, s[0:1], 0x68
	s_and_b32 s36, ttmp7, 0xffff
	s_add_co_i32 s35, s35, 1
	s_mul_i32 s33, s34, s33
	s_bfe_u32 s37, ttmp6, 0x40008
	s_mul_i32 s35, s36, s35
	s_bfe_u32 s24, ttmp6, 0x40004
	v_lshlrev_b64_e32 v[6:7], 3, v[6:7]
	v_bfe_u32 v1, v0, 10, 10
	s_add_co_i32 s31, s26, 0x7fffffff
	s_add_co_i32 s37, s37, s33
	;; [unrolled: 1-line block ×3, first 2 shown]
	v_bfe_u32 v10, v0, 20, 10
	s_cmp_eq_u32 s28, 0
	s_add_nc_u64 s[22:23], s[0:1], 0x68
	s_cselect_b32 s33, s36, s24
	s_cselect_b32 s34, s34, s37
	s_add_co_i32 s35, s10, -1
	s_mov_b32 s36, 0
	s_wait_kmcnt 0x0
	s_lshl_b64 s[16:17], s[2:3], 8
	s_lshl_b64 s[24:25], s[2:3], 11
	s_branch .LBB2_10
.LBB2_8:                                ;   in Loop: Header=BB2_10 Depth=1
	s_wait_xcnt 0x0
	s_or_b32 exec_lo, exec_lo, s37
.LBB2_9:                                ;   in Loop: Header=BB2_10 Depth=1
	v_add_nc_u64_e32 v[4:5], s[16:17], v[4:5]
	v_add_nc_u64_e32 v[6:7], s[24:25], v[6:7]
	s_delay_alu instid0(VALU_DEP_2)
	v_cmp_le_i64_e32 vcc_lo, s[18:19], v[4:5]
	s_or_b32 s36, vcc_lo, s36
	s_wait_xcnt 0x0
	s_and_not1_b32 exec_lo, exec_lo, s36
	s_cbranch_execz .LBB2_17
.LBB2_10:                               ; =>This Inner Loop Header: Depth=1
	s_delay_alu instid0(VALU_DEP_2)
	v_add_nc_u64_e32 v[8:9], s[14:15], v[6:7]
	v_add_nc_u64_e32 v[12:13], s[12:13], v[6:7]
	s_and_not1_b32 vcc_lo, exec_lo, s30
	s_mov_b32 s37, -1
	global_load_b64 v[8:9], v[8:9], off
	s_wait_loadcnt 0x1
	global_load_b32 v11, v[12:13], off
	s_wait_loadcnt 0x1
	v_cmp_neq_f64_e64 s2, s[6:7], v[8:9]
	s_cbranch_vccnz .LBB2_14
; %bb.11:                               ;   in Loop: Header=BB2_10 Depth=1
	s_wait_xcnt 0x0
	s_and_saveexec_b32 s37, s2
	s_cbranch_execz .LBB2_13
; %bb.12:                               ;   in Loop: Header=BB2_10 Depth=1
	s_load_b32 s38, s[22:23], 0xc
	s_wait_loadcnt 0x0
	v_mul_lo_u32 v13, s26, v11
	s_delay_alu instid0(VALU_DEP_1) | instskip(SKIP_4) | instid1(VALU_DEP_1)
	v_lshlrev_b32_e32 v13, 3, v13
	s_wait_kmcnt 0x0
	s_lshr_b32 s39, s38, 16
	s_and_b32 s38, s38, 0xffff
	v_mad_u32_u24 v12, v10, s39, v1
	v_mad_u32 v12, v12, s38, v2
	s_delay_alu instid0(VALU_DEP_1) | instskip(NEXT) | instid1(VALU_DEP_1)
	v_and_b32_e32 v12, s31, v12
	v_lshlrev_b32_e32 v12, 3, v12
	s_delay_alu instid0(VALU_DEP_1)
	v_add3_u32 v12, s29, v12, v13
	ds_add_f64 v12, v[8:9]
.LBB2_13:                               ;   in Loop: Header=BB2_10 Depth=1
	s_or_b32 exec_lo, exec_lo, s37
	s_mov_b32 s37, 0
.LBB2_14:                               ;   in Loop: Header=BB2_10 Depth=1
	s_delay_alu instid0(SALU_CYCLE_1)
	s_and_not1_b32 vcc_lo, exec_lo, s37
	s_cbranch_vccnz .LBB2_9
; %bb.15:                               ;   in Loop: Header=BB2_10 Depth=1
	s_wait_xcnt 0x0
	s_and_saveexec_b32 s37, s2
	s_cbranch_execz .LBB2_8
; %bb.16:                               ;   in Loop: Header=BB2_10 Depth=1
	global_load_b32 v12, v3, s[22:23] offset:14
	s_load_b64 s[38:39], s[22:23], 0x0
	s_wait_kmcnt 0x0
	s_cmp_lt_u32 s20, s38
	s_cselect_b32 s2, 12, 18
	s_delay_alu instid0(SALU_CYCLE_1) | instskip(SKIP_4) | instid1(VALU_DEP_1)
	s_add_nc_u64 s[40:41], s[22:23], s[2:3]
	s_load_u16 s2, s[40:41], 0x0
	s_wait_loadcnt 0x0
	v_and_b32_e32 v13, 0xffff, v12
	s_wait_kmcnt 0x0
	v_mul_lo_u32 v14, v13, s2
	v_mad_u32_u24 v13, v10, v13, v1
	s_delay_alu instid0(VALU_DEP_1) | instskip(SKIP_2) | instid1(SALU_CYCLE_1)
	v_mad_u32 v13, v13, s2, v2
	v_lshrrev_b32_e32 v12, 16, v12
	s_mul_i32 s2, s39, s34
	s_add_co_i32 s2, s2, s33
	s_delay_alu instid0(SALU_CYCLE_1) | instskip(NEXT) | instid1(SALU_CYCLE_1)
	s_mul_i32 s2, s2, s38
	s_add_co_i32 s2, s2, s20
	s_delay_alu instid0(VALU_DEP_2) | instskip(SKIP_1) | instid1(VALU_DEP_1)
	v_lshrrev_b32_e32 v13, 6, v13
	v_mul_lo_u32 v12, v14, v12
	v_add_nc_u32_e32 v12, 63, v12
	s_delay_alu instid0(VALU_DEP_1) | instskip(NEXT) | instid1(VALU_DEP_1)
	v_lshrrev_b32_e32 v12, 6, v12
	v_mad_u32 v12, v12, s2, v13
	s_delay_alu instid0(VALU_DEP_1) | instskip(NEXT) | instid1(VALU_DEP_1)
	v_and_b32_e32 v12, s35, v12
	v_mad_u32 v11, v12, s9, v11
	global_atomic_add_f64 v11, v[8:9], s[4:5] scale_offset scope:SCOPE_DEV
	s_branch .LBB2_8
.LBB2_17:
	s_or_b32 exec_lo, exec_lo, s21
	s_delay_alu instid0(SALU_CYCLE_1)
	s_and_not1_b32 vcc_lo, exec_lo, s27
	s_cbranch_vccnz .LBB2_27
; %bb.18:
	s_cmp_eq_u32 s11, 0x7ffffffe
	s_mov_b32 s13, 0
	s_cselect_b32 s2, -1, 0
	s_cmp_eq_u32 0, -1
	s_cselect_b32 s3, -1, 0
	s_delay_alu instid0(SALU_CYCLE_1) | instskip(NEXT) | instid1(SALU_CYCLE_1)
	s_or_b32 s2, s2, s3
	s_and_b32 vcc_lo, exec_lo, s2
	s_cbranch_vccnz .LBB2_27
; %bb.19:
	v_mov_b32_e32 v1, 0
	v_bfe_u32 v5, v0, 10, 10
	v_bfe_u32 v0, v0, 20, 10
	s_load_b64 s[2:3], s[0:1], 0x68
	global_load_b32 v1, v1, s[0:1] offset:118
	s_wait_xcnt 0x0
	s_add_nc_u64 s[0:1], s[0:1], 0x68
	s_wait_kmcnt 0x0
	s_cmp_lt_u32 s20, s2
	s_cselect_b32 s12, 12, 18
	s_delay_alu instid0(SALU_CYCLE_1)
	s_add_nc_u64 s[0:1], s[0:1], s[12:13]
	s_load_u16 s0, s[0:1], 0x0
	s_wait_storecnt 0x0
	s_wait_loadcnt_dscnt 0x0
	s_barrier_signal -1
	s_barrier_wait -1
	s_wait_xcnt 0x0
	s_mov_b32 s1, exec_lo
	s_wait_kmcnt 0x0
	v_mad_u32_u24 v2, v5, s0, v2
	v_and_b32_e32 v4, 0xffff, v1
	s_delay_alu instid0(VALU_DEP_1) | instskip(NEXT) | instid1(VALU_DEP_1)
	v_mul_lo_u32 v3, v4, s0
	v_mad_u32 v2, v3, v0, v2
	s_delay_alu instid0(VALU_DEP_1)
	v_cmpx_gt_i32_e64 s8, v2
	s_cbranch_execz .LBB2_27
; %bb.20:
	s_mul_i32 s0, s26, s0
	s_bfe_u32 s1, ttmp6, 0x40010
	v_mul_lo_u32 v0, s0, v4
	v_lshrrev_b32_e32 v1, 16, v1
	s_and_b32 s12, ttmp7, 0xffff
	s_add_co_i32 s1, s1, 1
	s_bfe_u32 s14, ttmp6, 0x40014
	s_bfe_u32 s13, ttmp6, 0x40004
	s_mul_i32 s1, s12, s1
	s_lshr_b32 s15, ttmp7, 16
	s_add_co_i32 s14, s14, 1
	s_add_co_i32 s13, s13, s1
	s_mul_i32 s1, s15, s14
	s_bfe_u32 s14, ttmp6, 0x40008
	v_mul_lo_u32 v0, v0, v1
	v_mul_lo_u32 v4, s26, v2
	s_add_co_i32 s14, s14, s1
	s_cmp_eq_u32 s28, 0
	s_cselect_b32 s0, s15, s14
	s_cselect_b32 s1, s12, s13
	s_mul_i32 s0, s3, s0
	s_delay_alu instid0(SALU_CYCLE_1) | instskip(NEXT) | instid1(SALU_CYCLE_1)
	s_add_co_i32 s0, s0, s1
	s_mul_i32 s0, s0, s2
	s_delay_alu instid0(VALU_DEP_2) | instskip(SKIP_1) | instid1(VALU_DEP_3)
	v_lshlrev_b32_e32 v5, 3, v0
	v_mul_lo_u32 v3, v3, v1
	v_lshlrev_b32_e32 v1, 3, v4
	s_add_co_i32 s1, s0, s20
	s_cmp_gt_i32 s26, 0
	s_cselect_b32 s0, -1, 0
	s_add_co_i32 s2, s10, -1
	v_add3_u32 v4, 0, s11, v1
	s_and_b32 s2, s1, s2
	s_mov_b32 s1, 0
	s_mul_i32 s2, s2, s9
	s_branch .LBB2_22
.LBB2_21:                               ;   in Loop: Header=BB2_22 Depth=1
	s_wait_xcnt 0x0
	s_or_b32 exec_lo, exec_lo, s3
	v_dual_add_nc_u32 v2, v2, v3 :: v_dual_add_nc_u32 v4, v4, v5
	s_delay_alu instid0(VALU_DEP_1) | instskip(SKIP_1) | instid1(SALU_CYCLE_1)
	v_cmp_le_i32_e32 vcc_lo, s8, v2
	s_or_b32 s1, vcc_lo, s1
	s_and_not1_b32 exec_lo, exec_lo, s1
	s_cbranch_execz .LBB2_27
.LBB2_22:                               ; =>This Loop Header: Depth=1
                                        ;     Child Loop BB2_24 Depth 2
	v_mov_b64_e32 v[0:1], s[6:7]
	s_and_not1_b32 vcc_lo, exec_lo, s0
	s_cbranch_vccnz .LBB2_25
; %bb.23:                               ;   in Loop: Header=BB2_22 Depth=1
	v_mov_b64_e32 v[0:1], s[6:7]
	v_mov_b32_e32 v6, v4
	s_mov_b32 s3, s26
.LBB2_24:                               ;   Parent Loop BB2_22 Depth=1
                                        ; =>  This Inner Loop Header: Depth=2
	ds_load_b64 v[8:9], v6
	s_add_co_i32 s3, s3, -1
	v_add_nc_u32_e32 v6, 8, v6
	s_cmp_eq_u32 s3, 0
	s_wait_dscnt 0x0
	v_add_f64_e32 v[0:1], v[0:1], v[8:9]
	s_cbranch_scc0 .LBB2_24
.LBB2_25:                               ;   in Loop: Header=BB2_22 Depth=1
	s_mov_b32 s3, exec_lo
	s_delay_alu instid0(VALU_DEP_1)
	v_cmpx_neq_f64_e32 s[6:7], v[0:1]
	s_cbranch_execz .LBB2_21
; %bb.26:                               ;   in Loop: Header=BB2_22 Depth=1
	v_add_nc_u32_e32 v6, s2, v2
	global_atomic_add_f64 v6, v[0:1], s[4:5] scale_offset scope:SCOPE_DEV
	s_branch .LBB2_21
.LBB2_27:
	s_endpgm
	.section	.rodata,"a",@progbits
	.p2align	6, 0x0
	.amdhsa_kernel _ZN4RAJA6policy3hip4impl18forallp_hip_kernelINS1_8hip_execINS_17iteration_mapping11StridedLoopILm0EEENS_3hip11IndexGlobalILNS_9named_dimE0ELi256ELi0EEENS8_40AvoidDeviceMaxThreadOccupancyConcretizerINS8_34FractionOffsetOccupancyConcretizerINS_8FractionImLm1ELm1EEELln1EEEEELb1EEENS_9Iterators16numeric_iteratorIllPlEEZN8rajaperf5basic12MULTI_REDUCE26runHipVariantAtomicRuntimeILl256ELl32ELl4ENSN_11gpu_mapping40global_loop_occupancy_grid_stride_helperEEEvNSN_9VariantIDEEUllE_lNS_4expt15ForallParamPackIJEEES7_SB_TnNSt9enable_ifIXaaaasr3std10is_base_ofINS5_15StridedLoopBaseET4_EE5valuesr3std10is_base_ofINS5_15UnsizedLoopBaseES10_EE5valuegtsrT5_10block_sizeLi0EEmE4typeELm256EEEvT1_T0_T2_T3_
		.amdhsa_group_segment_fixed_size 0
		.amdhsa_private_segment_fixed_size 0
		.amdhsa_kernarg_size 360
		.amdhsa_user_sgpr_count 2
		.amdhsa_user_sgpr_dispatch_ptr 0
		.amdhsa_user_sgpr_queue_ptr 0
		.amdhsa_user_sgpr_kernarg_segment_ptr 1
		.amdhsa_user_sgpr_dispatch_id 0
		.amdhsa_user_sgpr_kernarg_preload_length 0
		.amdhsa_user_sgpr_kernarg_preload_offset 0
		.amdhsa_user_sgpr_private_segment_size 0
		.amdhsa_wavefront_size32 1
		.amdhsa_uses_dynamic_stack 0
		.amdhsa_enable_private_segment 0
		.amdhsa_system_sgpr_workgroup_id_x 1
		.amdhsa_system_sgpr_workgroup_id_y 1
		.amdhsa_system_sgpr_workgroup_id_z 1
		.amdhsa_system_sgpr_workgroup_info 0
		.amdhsa_system_vgpr_workitem_id 2
		.amdhsa_next_free_vgpr 15
		.amdhsa_next_free_sgpr 42
		.amdhsa_named_barrier_count 0
		.amdhsa_reserve_vcc 1
		.amdhsa_float_round_mode_32 0
		.amdhsa_float_round_mode_16_64 0
		.amdhsa_float_denorm_mode_32 3
		.amdhsa_float_denorm_mode_16_64 3
		.amdhsa_fp16_overflow 0
		.amdhsa_memory_ordered 1
		.amdhsa_forward_progress 1
		.amdhsa_inst_pref_size 13
		.amdhsa_round_robin_scheduling 0
		.amdhsa_exception_fp_ieee_invalid_op 0
		.amdhsa_exception_fp_denorm_src 0
		.amdhsa_exception_fp_ieee_div_zero 0
		.amdhsa_exception_fp_ieee_overflow 0
		.amdhsa_exception_fp_ieee_underflow 0
		.amdhsa_exception_fp_ieee_inexact 0
		.amdhsa_exception_int_div_zero 0
	.end_amdhsa_kernel
	.section	.text._ZN4RAJA6policy3hip4impl18forallp_hip_kernelINS1_8hip_execINS_17iteration_mapping11StridedLoopILm0EEENS_3hip11IndexGlobalILNS_9named_dimE0ELi256ELi0EEENS8_40AvoidDeviceMaxThreadOccupancyConcretizerINS8_34FractionOffsetOccupancyConcretizerINS_8FractionImLm1ELm1EEELln1EEEEELb1EEENS_9Iterators16numeric_iteratorIllPlEEZN8rajaperf5basic12MULTI_REDUCE26runHipVariantAtomicRuntimeILl256ELl32ELl4ENSN_11gpu_mapping40global_loop_occupancy_grid_stride_helperEEEvNSN_9VariantIDEEUllE_lNS_4expt15ForallParamPackIJEEES7_SB_TnNSt9enable_ifIXaaaasr3std10is_base_ofINS5_15StridedLoopBaseET4_EE5valuesr3std10is_base_ofINS5_15UnsizedLoopBaseES10_EE5valuegtsrT5_10block_sizeLi0EEmE4typeELm256EEEvT1_T0_T2_T3_,"axG",@progbits,_ZN4RAJA6policy3hip4impl18forallp_hip_kernelINS1_8hip_execINS_17iteration_mapping11StridedLoopILm0EEENS_3hip11IndexGlobalILNS_9named_dimE0ELi256ELi0EEENS8_40AvoidDeviceMaxThreadOccupancyConcretizerINS8_34FractionOffsetOccupancyConcretizerINS_8FractionImLm1ELm1EEELln1EEEEELb1EEENS_9Iterators16numeric_iteratorIllPlEEZN8rajaperf5basic12MULTI_REDUCE26runHipVariantAtomicRuntimeILl256ELl32ELl4ENSN_11gpu_mapping40global_loop_occupancy_grid_stride_helperEEEvNSN_9VariantIDEEUllE_lNS_4expt15ForallParamPackIJEEES7_SB_TnNSt9enable_ifIXaaaasr3std10is_base_ofINS5_15StridedLoopBaseET4_EE5valuesr3std10is_base_ofINS5_15UnsizedLoopBaseES10_EE5valuegtsrT5_10block_sizeLi0EEmE4typeELm256EEEvT1_T0_T2_T3_,comdat
.Lfunc_end2:
	.size	_ZN4RAJA6policy3hip4impl18forallp_hip_kernelINS1_8hip_execINS_17iteration_mapping11StridedLoopILm0EEENS_3hip11IndexGlobalILNS_9named_dimE0ELi256ELi0EEENS8_40AvoidDeviceMaxThreadOccupancyConcretizerINS8_34FractionOffsetOccupancyConcretizerINS_8FractionImLm1ELm1EEELln1EEEEELb1EEENS_9Iterators16numeric_iteratorIllPlEEZN8rajaperf5basic12MULTI_REDUCE26runHipVariantAtomicRuntimeILl256ELl32ELl4ENSN_11gpu_mapping40global_loop_occupancy_grid_stride_helperEEEvNSN_9VariantIDEEUllE_lNS_4expt15ForallParamPackIJEEES7_SB_TnNSt9enable_ifIXaaaasr3std10is_base_ofINS5_15StridedLoopBaseET4_EE5valuesr3std10is_base_ofINS5_15UnsizedLoopBaseES10_EE5valuegtsrT5_10block_sizeLi0EEmE4typeELm256EEEvT1_T0_T2_T3_, .Lfunc_end2-_ZN4RAJA6policy3hip4impl18forallp_hip_kernelINS1_8hip_execINS_17iteration_mapping11StridedLoopILm0EEENS_3hip11IndexGlobalILNS_9named_dimE0ELi256ELi0EEENS8_40AvoidDeviceMaxThreadOccupancyConcretizerINS8_34FractionOffsetOccupancyConcretizerINS_8FractionImLm1ELm1EEELln1EEEEELb1EEENS_9Iterators16numeric_iteratorIllPlEEZN8rajaperf5basic12MULTI_REDUCE26runHipVariantAtomicRuntimeILl256ELl32ELl4ENSN_11gpu_mapping40global_loop_occupancy_grid_stride_helperEEEvNSN_9VariantIDEEUllE_lNS_4expt15ForallParamPackIJEEES7_SB_TnNSt9enable_ifIXaaaasr3std10is_base_ofINS5_15StridedLoopBaseET4_EE5valuesr3std10is_base_ofINS5_15UnsizedLoopBaseES10_EE5valuegtsrT5_10block_sizeLi0EEmE4typeELm256EEEvT1_T0_T2_T3_
                                        ; -- End function
	.set _ZN4RAJA6policy3hip4impl18forallp_hip_kernelINS1_8hip_execINS_17iteration_mapping11StridedLoopILm0EEENS_3hip11IndexGlobalILNS_9named_dimE0ELi256ELi0EEENS8_40AvoidDeviceMaxThreadOccupancyConcretizerINS8_34FractionOffsetOccupancyConcretizerINS_8FractionImLm1ELm1EEELln1EEEEELb1EEENS_9Iterators16numeric_iteratorIllPlEEZN8rajaperf5basic12MULTI_REDUCE26runHipVariantAtomicRuntimeILl256ELl32ELl4ENSN_11gpu_mapping40global_loop_occupancy_grid_stride_helperEEEvNSN_9VariantIDEEUllE_lNS_4expt15ForallParamPackIJEEES7_SB_TnNSt9enable_ifIXaaaasr3std10is_base_ofINS5_15StridedLoopBaseET4_EE5valuesr3std10is_base_ofINS5_15UnsizedLoopBaseES10_EE5valuegtsrT5_10block_sizeLi0EEmE4typeELm256EEEvT1_T0_T2_T3_.num_vgpr, 15
	.set _ZN4RAJA6policy3hip4impl18forallp_hip_kernelINS1_8hip_execINS_17iteration_mapping11StridedLoopILm0EEENS_3hip11IndexGlobalILNS_9named_dimE0ELi256ELi0EEENS8_40AvoidDeviceMaxThreadOccupancyConcretizerINS8_34FractionOffsetOccupancyConcretizerINS_8FractionImLm1ELm1EEELln1EEEEELb1EEENS_9Iterators16numeric_iteratorIllPlEEZN8rajaperf5basic12MULTI_REDUCE26runHipVariantAtomicRuntimeILl256ELl32ELl4ENSN_11gpu_mapping40global_loop_occupancy_grid_stride_helperEEEvNSN_9VariantIDEEUllE_lNS_4expt15ForallParamPackIJEEES7_SB_TnNSt9enable_ifIXaaaasr3std10is_base_ofINS5_15StridedLoopBaseET4_EE5valuesr3std10is_base_ofINS5_15UnsizedLoopBaseES10_EE5valuegtsrT5_10block_sizeLi0EEmE4typeELm256EEEvT1_T0_T2_T3_.num_agpr, 0
	.set _ZN4RAJA6policy3hip4impl18forallp_hip_kernelINS1_8hip_execINS_17iteration_mapping11StridedLoopILm0EEENS_3hip11IndexGlobalILNS_9named_dimE0ELi256ELi0EEENS8_40AvoidDeviceMaxThreadOccupancyConcretizerINS8_34FractionOffsetOccupancyConcretizerINS_8FractionImLm1ELm1EEELln1EEEEELb1EEENS_9Iterators16numeric_iteratorIllPlEEZN8rajaperf5basic12MULTI_REDUCE26runHipVariantAtomicRuntimeILl256ELl32ELl4ENSN_11gpu_mapping40global_loop_occupancy_grid_stride_helperEEEvNSN_9VariantIDEEUllE_lNS_4expt15ForallParamPackIJEEES7_SB_TnNSt9enable_ifIXaaaasr3std10is_base_ofINS5_15StridedLoopBaseET4_EE5valuesr3std10is_base_ofINS5_15UnsizedLoopBaseES10_EE5valuegtsrT5_10block_sizeLi0EEmE4typeELm256EEEvT1_T0_T2_T3_.numbered_sgpr, 42
	.set _ZN4RAJA6policy3hip4impl18forallp_hip_kernelINS1_8hip_execINS_17iteration_mapping11StridedLoopILm0EEENS_3hip11IndexGlobalILNS_9named_dimE0ELi256ELi0EEENS8_40AvoidDeviceMaxThreadOccupancyConcretizerINS8_34FractionOffsetOccupancyConcretizerINS_8FractionImLm1ELm1EEELln1EEEEELb1EEENS_9Iterators16numeric_iteratorIllPlEEZN8rajaperf5basic12MULTI_REDUCE26runHipVariantAtomicRuntimeILl256ELl32ELl4ENSN_11gpu_mapping40global_loop_occupancy_grid_stride_helperEEEvNSN_9VariantIDEEUllE_lNS_4expt15ForallParamPackIJEEES7_SB_TnNSt9enable_ifIXaaaasr3std10is_base_ofINS5_15StridedLoopBaseET4_EE5valuesr3std10is_base_ofINS5_15UnsizedLoopBaseES10_EE5valuegtsrT5_10block_sizeLi0EEmE4typeELm256EEEvT1_T0_T2_T3_.num_named_barrier, 0
	.set _ZN4RAJA6policy3hip4impl18forallp_hip_kernelINS1_8hip_execINS_17iteration_mapping11StridedLoopILm0EEENS_3hip11IndexGlobalILNS_9named_dimE0ELi256ELi0EEENS8_40AvoidDeviceMaxThreadOccupancyConcretizerINS8_34FractionOffsetOccupancyConcretizerINS_8FractionImLm1ELm1EEELln1EEEEELb1EEENS_9Iterators16numeric_iteratorIllPlEEZN8rajaperf5basic12MULTI_REDUCE26runHipVariantAtomicRuntimeILl256ELl32ELl4ENSN_11gpu_mapping40global_loop_occupancy_grid_stride_helperEEEvNSN_9VariantIDEEUllE_lNS_4expt15ForallParamPackIJEEES7_SB_TnNSt9enable_ifIXaaaasr3std10is_base_ofINS5_15StridedLoopBaseET4_EE5valuesr3std10is_base_ofINS5_15UnsizedLoopBaseES10_EE5valuegtsrT5_10block_sizeLi0EEmE4typeELm256EEEvT1_T0_T2_T3_.private_seg_size, 0
	.set _ZN4RAJA6policy3hip4impl18forallp_hip_kernelINS1_8hip_execINS_17iteration_mapping11StridedLoopILm0EEENS_3hip11IndexGlobalILNS_9named_dimE0ELi256ELi0EEENS8_40AvoidDeviceMaxThreadOccupancyConcretizerINS8_34FractionOffsetOccupancyConcretizerINS_8FractionImLm1ELm1EEELln1EEEEELb1EEENS_9Iterators16numeric_iteratorIllPlEEZN8rajaperf5basic12MULTI_REDUCE26runHipVariantAtomicRuntimeILl256ELl32ELl4ENSN_11gpu_mapping40global_loop_occupancy_grid_stride_helperEEEvNSN_9VariantIDEEUllE_lNS_4expt15ForallParamPackIJEEES7_SB_TnNSt9enable_ifIXaaaasr3std10is_base_ofINS5_15StridedLoopBaseET4_EE5valuesr3std10is_base_ofINS5_15UnsizedLoopBaseES10_EE5valuegtsrT5_10block_sizeLi0EEmE4typeELm256EEEvT1_T0_T2_T3_.uses_vcc, 1
	.set _ZN4RAJA6policy3hip4impl18forallp_hip_kernelINS1_8hip_execINS_17iteration_mapping11StridedLoopILm0EEENS_3hip11IndexGlobalILNS_9named_dimE0ELi256ELi0EEENS8_40AvoidDeviceMaxThreadOccupancyConcretizerINS8_34FractionOffsetOccupancyConcretizerINS_8FractionImLm1ELm1EEELln1EEEEELb1EEENS_9Iterators16numeric_iteratorIllPlEEZN8rajaperf5basic12MULTI_REDUCE26runHipVariantAtomicRuntimeILl256ELl32ELl4ENSN_11gpu_mapping40global_loop_occupancy_grid_stride_helperEEEvNSN_9VariantIDEEUllE_lNS_4expt15ForallParamPackIJEEES7_SB_TnNSt9enable_ifIXaaaasr3std10is_base_ofINS5_15StridedLoopBaseET4_EE5valuesr3std10is_base_ofINS5_15UnsizedLoopBaseES10_EE5valuegtsrT5_10block_sizeLi0EEmE4typeELm256EEEvT1_T0_T2_T3_.uses_flat_scratch, 0
	.set _ZN4RAJA6policy3hip4impl18forallp_hip_kernelINS1_8hip_execINS_17iteration_mapping11StridedLoopILm0EEENS_3hip11IndexGlobalILNS_9named_dimE0ELi256ELi0EEENS8_40AvoidDeviceMaxThreadOccupancyConcretizerINS8_34FractionOffsetOccupancyConcretizerINS_8FractionImLm1ELm1EEELln1EEEEELb1EEENS_9Iterators16numeric_iteratorIllPlEEZN8rajaperf5basic12MULTI_REDUCE26runHipVariantAtomicRuntimeILl256ELl32ELl4ENSN_11gpu_mapping40global_loop_occupancy_grid_stride_helperEEEvNSN_9VariantIDEEUllE_lNS_4expt15ForallParamPackIJEEES7_SB_TnNSt9enable_ifIXaaaasr3std10is_base_ofINS5_15StridedLoopBaseET4_EE5valuesr3std10is_base_ofINS5_15UnsizedLoopBaseES10_EE5valuegtsrT5_10block_sizeLi0EEmE4typeELm256EEEvT1_T0_T2_T3_.has_dyn_sized_stack, 0
	.set _ZN4RAJA6policy3hip4impl18forallp_hip_kernelINS1_8hip_execINS_17iteration_mapping11StridedLoopILm0EEENS_3hip11IndexGlobalILNS_9named_dimE0ELi256ELi0EEENS8_40AvoidDeviceMaxThreadOccupancyConcretizerINS8_34FractionOffsetOccupancyConcretizerINS_8FractionImLm1ELm1EEELln1EEEEELb1EEENS_9Iterators16numeric_iteratorIllPlEEZN8rajaperf5basic12MULTI_REDUCE26runHipVariantAtomicRuntimeILl256ELl32ELl4ENSN_11gpu_mapping40global_loop_occupancy_grid_stride_helperEEEvNSN_9VariantIDEEUllE_lNS_4expt15ForallParamPackIJEEES7_SB_TnNSt9enable_ifIXaaaasr3std10is_base_ofINS5_15StridedLoopBaseET4_EE5valuesr3std10is_base_ofINS5_15UnsizedLoopBaseES10_EE5valuegtsrT5_10block_sizeLi0EEmE4typeELm256EEEvT1_T0_T2_T3_.has_recursion, 0
	.set _ZN4RAJA6policy3hip4impl18forallp_hip_kernelINS1_8hip_execINS_17iteration_mapping11StridedLoopILm0EEENS_3hip11IndexGlobalILNS_9named_dimE0ELi256ELi0EEENS8_40AvoidDeviceMaxThreadOccupancyConcretizerINS8_34FractionOffsetOccupancyConcretizerINS_8FractionImLm1ELm1EEELln1EEEEELb1EEENS_9Iterators16numeric_iteratorIllPlEEZN8rajaperf5basic12MULTI_REDUCE26runHipVariantAtomicRuntimeILl256ELl32ELl4ENSN_11gpu_mapping40global_loop_occupancy_grid_stride_helperEEEvNSN_9VariantIDEEUllE_lNS_4expt15ForallParamPackIJEEES7_SB_TnNSt9enable_ifIXaaaasr3std10is_base_ofINS5_15StridedLoopBaseET4_EE5valuesr3std10is_base_ofINS5_15UnsizedLoopBaseES10_EE5valuegtsrT5_10block_sizeLi0EEmE4typeELm256EEEvT1_T0_T2_T3_.has_indirect_call, 0
	.section	.AMDGPU.csdata,"",@progbits
; Kernel info:
; codeLenInByte = 1544
; TotalNumSgprs: 44
; NumVgprs: 15
; ScratchSize: 0
; MemoryBound: 0
; FloatMode: 240
; IeeeMode: 1
; LDSByteSize: 0 bytes/workgroup (compile time only)
; SGPRBlocks: 0
; VGPRBlocks: 0
; NumSGPRsForWavesPerEU: 44
; NumVGPRsForWavesPerEU: 15
; NamedBarCnt: 0
; Occupancy: 16
; WaveLimiterHint : 1
; COMPUTE_PGM_RSRC2:SCRATCH_EN: 0
; COMPUTE_PGM_RSRC2:USER_SGPR: 2
; COMPUTE_PGM_RSRC2:TRAP_HANDLER: 0
; COMPUTE_PGM_RSRC2:TGID_X_EN: 1
; COMPUTE_PGM_RSRC2:TGID_Y_EN: 1
; COMPUTE_PGM_RSRC2:TGID_Z_EN: 1
; COMPUTE_PGM_RSRC2:TIDIG_COMP_CNT: 2
	.section	.AMDGPU.gpr_maximums,"",@progbits
	.set amdgpu.max_num_vgpr, 0
	.set amdgpu.max_num_agpr, 0
	.set amdgpu.max_num_sgpr, 0
	.section	.AMDGPU.csdata,"",@progbits
	.type	__hip_cuid_bdb17d01d7332143,@object ; @__hip_cuid_bdb17d01d7332143
	.section	.bss,"aw",@nobits
	.globl	__hip_cuid_bdb17d01d7332143
__hip_cuid_bdb17d01d7332143:
	.byte	0                               ; 0x0
	.size	__hip_cuid_bdb17d01d7332143, 1

	.ident	"AMD clang version 22.0.0git (https://github.com/RadeonOpenCompute/llvm-project roc-7.2.4 26084 f58b06dce1f9c15707c5f808fd002e18c2accf7e)"
	.section	".note.GNU-stack","",@progbits
	.addrsig
	.addrsig_sym _ZN8rajaperf5basic13shared_valuesE
	.addrsig_sym _ZN4RAJA3hip10shared_memE
	.addrsig_sym __hip_cuid_bdb17d01d7332143
	.amdgpu_metadata
---
amdhsa.kernels:
  - .args:
      - .address_space:  global
        .offset:         0
        .size:           8
        .value_kind:     global_buffer
      - .address_space:  global
        .offset:         8
        .size:           8
        .value_kind:     global_buffer
      - .address_space:  global
        .offset:         16
        .size:           8
        .value_kind:     global_buffer
      - .offset:         24
        .size:           8
        .value_kind:     by_value
      - .offset:         32
        .size:           8
        .value_kind:     by_value
      - .offset:         40
        .size:           8
        .value_kind:     by_value
      - .offset:         48
        .size:           8
        .value_kind:     by_value
      - .offset:         56
        .size:           4
        .value_kind:     hidden_block_count_x
      - .offset:         60
        .size:           4
        .value_kind:     hidden_block_count_y
      - .offset:         64
        .size:           4
        .value_kind:     hidden_block_count_z
      - .offset:         68
        .size:           2
        .value_kind:     hidden_group_size_x
      - .offset:         70
        .size:           2
        .value_kind:     hidden_group_size_y
      - .offset:         72
        .size:           2
        .value_kind:     hidden_group_size_z
      - .offset:         74
        .size:           2
        .value_kind:     hidden_remainder_x
      - .offset:         76
        .size:           2
        .value_kind:     hidden_remainder_y
      - .offset:         78
        .size:           2
        .value_kind:     hidden_remainder_z
      - .offset:         96
        .size:           8
        .value_kind:     hidden_global_offset_x
      - .offset:         104
        .size:           8
        .value_kind:     hidden_global_offset_y
      - .offset:         112
        .size:           8
        .value_kind:     hidden_global_offset_z
      - .offset:         120
        .size:           2
        .value_kind:     hidden_grid_dims
      - .offset:         176
        .size:           4
        .value_kind:     hidden_dynamic_lds_size
    .group_segment_fixed_size: 0
    .kernarg_segment_align: 8
    .kernarg_segment_size: 312
    .language:       OpenCL C
    .language_version:
      - 2
      - 0
    .max_flat_workgroup_size: 256
    .name:           _ZN8rajaperf5basic27multi_reduce_atomic_runtimeILl256EEEvPdS2_Plllll
    .private_segment_fixed_size: 0
    .sgpr_count:     28
    .sgpr_spill_count: 0
    .symbol:         _ZN8rajaperf5basic27multi_reduce_atomic_runtimeILl256EEEvPdS2_Plllll.kd
    .uniform_work_group_size: 1
    .uses_dynamic_stack: false
    .vgpr_count:     16
    .vgpr_spill_count: 0
    .wavefront_size: 32
  - .args:
      - .offset:         0
        .size:           80
        .value_kind:     by_value
      - .offset:         80
        .size:           8
        .value_kind:     by_value
      - .offset:         88
        .size:           8
        .value_kind:     by_value
      - .offset:         96
        .size:           1
        .value_kind:     by_value
      - .offset:         104
        .size:           4
        .value_kind:     hidden_block_count_x
      - .offset:         108
        .size:           4
        .value_kind:     hidden_block_count_y
      - .offset:         112
        .size:           4
        .value_kind:     hidden_block_count_z
      - .offset:         116
        .size:           2
        .value_kind:     hidden_group_size_x
      - .offset:         118
        .size:           2
        .value_kind:     hidden_group_size_y
      - .offset:         120
        .size:           2
        .value_kind:     hidden_group_size_z
      - .offset:         122
        .size:           2
        .value_kind:     hidden_remainder_x
      - .offset:         124
        .size:           2
        .value_kind:     hidden_remainder_y
      - .offset:         126
        .size:           2
        .value_kind:     hidden_remainder_z
      - .offset:         144
        .size:           8
        .value_kind:     hidden_global_offset_x
      - .offset:         152
        .size:           8
        .value_kind:     hidden_global_offset_y
      - .offset:         160
        .size:           8
        .value_kind:     hidden_global_offset_z
      - .offset:         168
        .size:           2
        .value_kind:     hidden_grid_dims
      - .offset:         224
        .size:           4
        .value_kind:     hidden_dynamic_lds_size
    .group_segment_fixed_size: 0
    .kernarg_segment_align: 8
    .kernarg_segment_size: 360
    .language:       OpenCL C
    .language_version:
      - 2
      - 0
    .max_flat_workgroup_size: 256
    .name:           _ZN4RAJA6policy3hip4impl18forallp_hip_kernelINS1_8hip_execINS_17iteration_mapping6DirectENS_3hip11IndexGlobalILNS_9named_dimE0ELi256ELi0EEENS7_40AvoidDeviceMaxThreadOccupancyConcretizerINS7_34FractionOffsetOccupancyConcretizerINS_8FractionImLm1ELm1EEELln1EEEEELb1EEENS_9Iterators16numeric_iteratorIllPlEEZN8rajaperf5basic12MULTI_REDUCE26runHipVariantAtomicRuntimeILl256ELl32ELl4ENSM_11gpu_mapping20global_direct_helperEEEvNSM_9VariantIDEEUllE_lNS_4expt15ForallParamPackIJEEES6_SA_TnNSt9enable_ifIXaasr3std10is_base_ofINS5_10DirectBaseET4_EE5valuegtsrT5_10block_sizeLi0EEmE4typeELm256EEEvT1_T0_T2_T3_
    .private_segment_fixed_size: 0
    .sgpr_count:     28
    .sgpr_spill_count: 0
    .symbol:         _ZN4RAJA6policy3hip4impl18forallp_hip_kernelINS1_8hip_execINS_17iteration_mapping6DirectENS_3hip11IndexGlobalILNS_9named_dimE0ELi256ELi0EEENS7_40AvoidDeviceMaxThreadOccupancyConcretizerINS7_34FractionOffsetOccupancyConcretizerINS_8FractionImLm1ELm1EEELln1EEEEELb1EEENS_9Iterators16numeric_iteratorIllPlEEZN8rajaperf5basic12MULTI_REDUCE26runHipVariantAtomicRuntimeILl256ELl32ELl4ENSM_11gpu_mapping20global_direct_helperEEEvNSM_9VariantIDEEUllE_lNS_4expt15ForallParamPackIJEEES6_SA_TnNSt9enable_ifIXaasr3std10is_base_ofINS5_10DirectBaseET4_EE5valuegtsrT5_10block_sizeLi0EEmE4typeELm256EEEvT1_T0_T2_T3_.kd
    .uniform_work_group_size: 1
    .uses_dynamic_stack: false
    .vgpr_count:     10
    .vgpr_spill_count: 0
    .wavefront_size: 32
  - .args:
      - .offset:         0
        .size:           80
        .value_kind:     by_value
      - .offset:         80
        .size:           8
        .value_kind:     by_value
      - .offset:         88
        .size:           8
        .value_kind:     by_value
      - .offset:         96
        .size:           1
        .value_kind:     by_value
      - .offset:         104
        .size:           4
        .value_kind:     hidden_block_count_x
      - .offset:         108
        .size:           4
        .value_kind:     hidden_block_count_y
      - .offset:         112
        .size:           4
        .value_kind:     hidden_block_count_z
      - .offset:         116
        .size:           2
        .value_kind:     hidden_group_size_x
      - .offset:         118
        .size:           2
        .value_kind:     hidden_group_size_y
      - .offset:         120
        .size:           2
        .value_kind:     hidden_group_size_z
      - .offset:         122
        .size:           2
        .value_kind:     hidden_remainder_x
      - .offset:         124
        .size:           2
        .value_kind:     hidden_remainder_y
      - .offset:         126
        .size:           2
        .value_kind:     hidden_remainder_z
      - .offset:         144
        .size:           8
        .value_kind:     hidden_global_offset_x
      - .offset:         152
        .size:           8
        .value_kind:     hidden_global_offset_y
      - .offset:         160
        .size:           8
        .value_kind:     hidden_global_offset_z
      - .offset:         168
        .size:           2
        .value_kind:     hidden_grid_dims
      - .offset:         224
        .size:           4
        .value_kind:     hidden_dynamic_lds_size
    .group_segment_fixed_size: 0
    .kernarg_segment_align: 8
    .kernarg_segment_size: 360
    .language:       OpenCL C
    .language_version:
      - 2
      - 0
    .max_flat_workgroup_size: 256
    .name:           _ZN4RAJA6policy3hip4impl18forallp_hip_kernelINS1_8hip_execINS_17iteration_mapping11StridedLoopILm0EEENS_3hip11IndexGlobalILNS_9named_dimE0ELi256ELi0EEENS8_40AvoidDeviceMaxThreadOccupancyConcretizerINS8_34FractionOffsetOccupancyConcretizerINS_8FractionImLm1ELm1EEELln1EEEEELb1EEENS_9Iterators16numeric_iteratorIllPlEEZN8rajaperf5basic12MULTI_REDUCE26runHipVariantAtomicRuntimeILl256ELl32ELl4ENSN_11gpu_mapping40global_loop_occupancy_grid_stride_helperEEEvNSN_9VariantIDEEUllE_lNS_4expt15ForallParamPackIJEEES7_SB_TnNSt9enable_ifIXaaaasr3std10is_base_ofINS5_15StridedLoopBaseET4_EE5valuesr3std10is_base_ofINS5_15UnsizedLoopBaseES10_EE5valuegtsrT5_10block_sizeLi0EEmE4typeELm256EEEvT1_T0_T2_T3_
    .private_segment_fixed_size: 0
    .sgpr_count:     44
    .sgpr_spill_count: 0
    .symbol:         _ZN4RAJA6policy3hip4impl18forallp_hip_kernelINS1_8hip_execINS_17iteration_mapping11StridedLoopILm0EEENS_3hip11IndexGlobalILNS_9named_dimE0ELi256ELi0EEENS8_40AvoidDeviceMaxThreadOccupancyConcretizerINS8_34FractionOffsetOccupancyConcretizerINS_8FractionImLm1ELm1EEELln1EEEEELb1EEENS_9Iterators16numeric_iteratorIllPlEEZN8rajaperf5basic12MULTI_REDUCE26runHipVariantAtomicRuntimeILl256ELl32ELl4ENSN_11gpu_mapping40global_loop_occupancy_grid_stride_helperEEEvNSN_9VariantIDEEUllE_lNS_4expt15ForallParamPackIJEEES7_SB_TnNSt9enable_ifIXaaaasr3std10is_base_ofINS5_15StridedLoopBaseET4_EE5valuesr3std10is_base_ofINS5_15UnsizedLoopBaseES10_EE5valuegtsrT5_10block_sizeLi0EEmE4typeELm256EEEvT1_T0_T2_T3_.kd
    .uniform_work_group_size: 1
    .uses_dynamic_stack: false
    .vgpr_count:     15
    .vgpr_spill_count: 0
    .wavefront_size: 32
amdhsa.target:   amdgcn-amd-amdhsa--gfx1250
amdhsa.version:
  - 1
  - 2
...

	.end_amdgpu_metadata
